;; amdgpu-corpus repo=ROCm/rocFFT kind=compiled arch=gfx1030 opt=O3
	.text
	.amdgcn_target "amdgcn-amd-amdhsa--gfx1030"
	.amdhsa_code_object_version 6
	.protected	bluestein_single_fwd_len2880_dim1_half_op_CI_CI ; -- Begin function bluestein_single_fwd_len2880_dim1_half_op_CI_CI
	.globl	bluestein_single_fwd_len2880_dim1_half_op_CI_CI
	.p2align	8
	.type	bluestein_single_fwd_len2880_dim1_half_op_CI_CI,@function
bluestein_single_fwd_len2880_dim1_half_op_CI_CI: ; @bluestein_single_fwd_len2880_dim1_half_op_CI_CI
; %bb.0:
	s_load_dwordx4 s[16:19], s[4:5], 0x28
	v_mul_u32_u24_e32 v1, 0x2ab, v0
	v_mov_b32_e32 v41, 0
	s_mov_b32 s0, exec_lo
	v_lshrrev_b32_e32 v1, 16, v1
	v_add_nc_u32_e32 v40, s6, v1
	s_waitcnt lgkmcnt(0)
	v_cmpx_gt_u64_e64 s[16:17], v[40:41]
	s_cbranch_execz .LBB0_2
; %bb.1:
	s_clause 0x1
	s_load_dwordx4 s[8:11], s[4:5], 0x18
	s_load_dwordx4 s[0:3], s[4:5], 0x0
	v_mul_lo_u16 v1, 0x60, v1
	v_mov_b32_e32 v164, 60
	s_load_dwordx2 s[4:5], s[4:5], 0x38
	v_sub_nc_u16 v49, v0, v1
	v_and_b32_e32 v94, 0xffff, v49
	v_or_b32_e32 v86, 0x480, v94
	v_or_b32_e32 v78, 0x900, v94
	;; [unrolled: 1-line block ×3, first 2 shown]
	s_waitcnt lgkmcnt(0)
	s_load_dwordx4 s[12:15], s[8:9], 0x0
	v_or_b32_e32 v67, 0x600, v94
	v_or_b32_e32 v63, 0xa80, v94
	v_lshlrev_b32_e32 v97, 2, v94
	s_add_u32 s6, s0, 0x2d00
	v_lshlrev_b32_e32 v43, 2, v78
	v_or_b32_e32 v58, 0x300, v94
	v_or_b32_e32 v53, 0x780, v94
	v_add_co_u32 v20, s7, s0, v97
	v_add_co_ci_u32_e64 v21, null, s1, 0, s7
	s_addc_u32 s7, s1, 0
	s_clause 0x1
	global_load_dword v101, v97, s[0:1]
	global_load_dword v84, v43, s[0:1]
	v_lshlrev_b32_e32 v47, 2, v67
	v_lshlrev_b32_e32 v45, 2, v63
	;; [unrolled: 1-line block ×5, first 2 shown]
	s_waitcnt lgkmcnt(0)
	v_mad_u64_u32 v[0:1], null, s14, v40, 0
	v_mad_u64_u32 v[2:3], null, s12, v94, 0
	;; [unrolled: 1-line block ×9, first 2 shown]
	v_mov_b32_e32 v1, v14
	v_mad_u64_u32 v[12:13], null, s12, v63, 0
	v_mad_u64_u32 v[17:18], null, s13, v74, v[9:10]
	v_mov_b32_e32 v3, v15
	v_lshlrev_b64 v[0:1], 2, v[0:1]
	v_mov_b32_e32 v7, v16
	v_mad_u64_u32 v[18:19], null, s13, v86, v[5:6]
	v_lshlrev_b64 v[2:3], 2, v[2:3]
	v_mov_b32_e32 v9, v17
	v_add_co_u32 v16, vcc_lo, s18, v0
	v_lshlrev_b64 v[5:6], 2, v[6:7]
	v_add_co_ci_u32_e32 v17, vcc_lo, s19, v1, vcc_lo
	v_mad_u64_u32 v[14:15], null, s13, v67, v[11:12]
	v_add_co_u32 v2, vcc_lo, v16, v2
	v_add_co_ci_u32_e32 v3, vcc_lo, v17, v3, vcc_lo
	v_add_co_u32 v5, vcc_lo, v16, v5
	s_mul_i32 s9, s13, 0x480
	s_mul_hi_u32 s14, s12, 0x480
	s_mul_i32 s8, s12, 0x480
	v_add_co_ci_u32_e32 v6, vcc_lo, v17, v6, vcc_lo
	s_add_i32 s9, s14, s9
	v_add_co_u32 v7, vcc_lo, v2, s8
	v_lshlrev_b64 v[0:1], 2, v[8:9]
	v_add_co_ci_u32_e32 v8, vcc_lo, s9, v3, vcc_lo
	v_mov_b32_e32 v11, v14
	s_clause 0x2
	global_load_dword v19, v[2:3], off
	global_load_dword v22, v[5:6], off
	;; [unrolled: 1-line block ×3, first 2 shown]
	v_mad_u64_u32 v[5:6], null, s13, v63, v[13:14]
	v_add_co_u32 v0, vcc_lo, v16, v0
	v_lshlrev_b64 v[9:10], 2, v[10:11]
	v_add_co_ci_u32_e32 v1, vcc_lo, v17, v1, vcc_lo
	v_mad_u64_u32 v[2:3], null, s12, v58, 0
	v_mov_b32_e32 v13, v5
	v_add_co_u32 v5, vcc_lo, v16, v9
	v_add_co_ci_u32_e32 v6, vcc_lo, v17, v10, vcc_lo
	v_mad_u64_u32 v[14:15], null, s12, v53, 0
	s_clause 0x1
	global_load_dword v24, v[0:1], off
	global_load_dword v25, v[5:6], off
	v_mov_b32_e32 v0, v3
	v_lshlrev_b64 v[9:10], 2, v[12:13]
	v_mov_b32_e32 v5, v18
	global_load_dword v81, v97, s[0:1] offset:1536
	s_mul_i32 s14, s13, 0x900
	v_mad_u64_u32 v[0:1], null, s13, v58, v[0:1]
	v_mov_b32_e32 v1, v15
	v_lshlrev_b64 v[4:5], 2, v[4:5]
	s_mul_hi_u32 s15, s12, 0x900
	s_mul_i32 s16, s13, 0xffffd900
	s_add_i32 s15, s15, s14
	v_mad_u64_u32 v[11:12], null, s13, v53, v[1:2]
	v_mov_b32_e32 v3, v0
	v_add_co_u32 v0, vcc_lo, v16, v9
	v_add_co_ci_u32_e32 v1, vcc_lo, v17, v10, vcc_lo
	v_lshlrev_b64 v[2:3], 2, v[2:3]
	v_mov_b32_e32 v15, v11
	global_load_dword v73, v47, s[0:1]
	global_load_dword v26, v[0:1], off
	s_mul_i32 s14, s12, 0x900
	s_sub_i32 s16, s16, s12
	s_mulk_i32 s13, 0xdd80
	v_lshlrev_b64 v[0:1], 2, v[14:15]
	v_add_co_u32 v2, vcc_lo, v16, v2
	v_add_co_ci_u32_e32 v3, vcc_lo, v17, v3, vcc_lo
	global_load_dword v66, v45, s[0:1]
	global_load_dword v14, v[2:3], off
	v_add_co_u32 v0, vcc_lo, v16, v0
	v_add_co_ci_u32_e32 v1, vcc_lo, v17, v1, vcc_lo
	v_add_co_u32 v2, vcc_lo, v16, v4
	v_add_co_ci_u32_e32 v3, vcc_lo, v17, v5, vcc_lo
	global_load_dword v62, v46, s[0:1]
	global_load_dword v15, v[0:1], off
	global_load_dword v57, v44, s[0:1]
	global_load_dword v16, v[2:3], off
	s_clause 0x2
	global_load_dword v95, v48, s[0:1]
	global_load_dword v64, v97, s[0:1] offset:1920
	global_load_dword v102, v97, s[0:1] offset:1152
	v_add_co_u32 v0, vcc_lo, v7, s8
	v_add_co_ci_u32_e32 v1, vcc_lo, s9, v8, vcc_lo
	v_add_co_u32 v2, vcc_lo, 0x800, v20
	v_add_co_ci_u32_e32 v3, vcc_lo, 0, v21, vcc_lo
	global_load_dword v17, v[0:1], off
	global_load_dword v100, v[2:3], off offset:256
	v_add_co_u32 v0, vcc_lo, v0, s8
	v_add_co_ci_u32_e32 v1, vcc_lo, s9, v1, vcc_lo
	v_add_nc_u32_e32 v107, 0xa00, v97
	v_add_co_u32 v4, vcc_lo, v0, s14
	v_add_co_ci_u32_e32 v5, vcc_lo, s15, v1, vcc_lo
	global_load_dword v96, v[2:3], off offset:1408
	s_clause 0x1
	global_load_dword v18, v[0:1], off
	global_load_dword v27, v[4:5], off
	v_add_co_u32 v0, vcc_lo, 0x1000, v20
	v_add_co_ci_u32_e32 v1, vcc_lo, 0, v21, vcc_lo
	v_add_co_u32 v4, vcc_lo, v4, s8
	v_add_co_ci_u32_e32 v5, vcc_lo, s9, v5, vcc_lo
	global_load_dword v92, v[0:1], off offset:1664
	v_add_co_u32 v6, vcc_lo, v4, s8
	v_add_co_ci_u32_e32 v7, vcc_lo, s9, v5, vcc_lo
	v_add_co_u32 v8, vcc_lo, 0x1800, v20
	v_add_co_ci_u32_e32 v9, vcc_lo, 0, v21, vcc_lo
	v_add_co_u32 v10, vcc_lo, v6, s14
	v_add_co_ci_u32_e32 v11, vcc_lo, s15, v7, vcc_lo
	global_load_dword v28, v[4:5], off
	global_load_dword v90, v[8:9], off offset:768
	global_load_dword v29, v[6:7], off
	v_add_co_u32 v6, vcc_lo, 0x2800, v20
	v_mad_u64_u32 v[4:5], null, 0xffffd900, s12, v[10:11]
	v_add_co_ci_u32_e32 v7, vcc_lo, 0, v21, vcc_lo
	global_load_dword v30, v[10:11], off
	s_clause 0x2
	global_load_dword v87, v[8:9], off offset:1920
	global_load_dword v83, v97, s[0:1] offset:384
	global_load_dword v85, v[6:7], off offset:128
	v_add_nc_u32_e32 v5, s16, v5
	v_add_co_u32 v10, vcc_lo, v4, s14
	v_add_nc_u32_e32 v91, 0x1c00, v97
	v_add_nc_u32_e32 v82, 0x400, v97
	v_add_co_ci_u32_e32 v11, vcc_lo, s15, v5, vcc_lo
	global_load_dword v31, v[4:5], off
	v_add_co_u32 v4, vcc_lo, v10, s8
	v_add_co_ci_u32_e32 v5, vcc_lo, s9, v11, vcc_lo
	v_add_nc_u32_e32 v79, 0xe00, v97
	v_add_co_u32 v12, vcc_lo, v4, s8
	v_add_co_ci_u32_e32 v13, vcc_lo, s9, v5, vcc_lo
	global_load_dword v32, v[10:11], off
	s_clause 0x1
	global_load_dword v77, v[2:3], off offset:1792
	global_load_dword v80, v[2:3], off offset:640
	global_load_dword v33, v[4:5], off
	global_load_dword v34, v[12:13], off
	v_add_co_u32 v2, vcc_lo, v12, s14
	v_add_co_ci_u32_e32 v3, vcc_lo, s15, v13, vcc_lo
	global_load_dword v75, v[0:1], off offset:896
	v_add_co_u32 v4, vcc_lo, v2, s8
	v_add_co_ci_u32_e32 v5, vcc_lo, s9, v3, vcc_lo
	global_load_dword v35, v[2:3], off
	v_add_co_u32 v2, vcc_lo, v4, s8
	v_add_co_ci_u32_e32 v3, vcc_lo, s9, v5, vcc_lo
	v_add_co_u32 v10, vcc_lo, 0x2000, v20
	v_add_co_ci_u32_e32 v11, vcc_lo, 0, v21, vcc_lo
	v_mad_u64_u32 v[12:13], null, 0xffffdd80, s12, v[2:3]
	s_sub_i32 s12, s13, s12
	global_load_dword v72, v[8:9], off offset:1152
	global_load_dword v20, v[4:5], off
	global_load_dword v21, v[2:3], off
	s_clause 0x1
	global_load_dword v70, v[10:11], off offset:256
	global_load_dword v69, v[10:11], off offset:1408
	v_add_nc_u32_e32 v106, 0x1200, v97
	v_add_nc_u32_e32 v13, s12, v13
	v_add_co_u32 v2, vcc_lo, v12, s8
	v_add_nc_u32_e32 v76, 0x1800, v97
	v_add_nc_u32_e32 v105, 0x200, v97
	v_add_co_ci_u32_e32 v3, vcc_lo, s9, v13, vcc_lo
	v_add_co_u32 v4, vcc_lo, v2, s14
	v_add_nc_u32_e32 v71, 0x2000, v97
	v_add_co_ci_u32_e32 v5, vcc_lo, s15, v3, vcc_lo
	global_load_dword v12, v[12:13], off
	global_load_dword v65, v97, s[0:1] offset:768
	global_load_dword v13, v[2:3], off
	global_load_dword v36, v[4:5], off
	v_add_co_u32 v2, vcc_lo, v4, s8
	v_add_co_ci_u32_e32 v3, vcc_lo, s9, v5, vcc_lo
	s_clause 0x1
	global_load_dword v60, v[0:1], off offset:1280
	global_load_dword v61, v[0:1], off offset:128
	v_add_co_u32 v0, vcc_lo, v2, s8
	v_add_co_ci_u32_e32 v1, vcc_lo, s9, v3, vcc_lo
	global_load_dword v4, v[2:3], off
	v_add_co_u32 v2, vcc_lo, v0, s14
	v_add_co_ci_u32_e32 v3, vcc_lo, s15, v1, vcc_lo
	global_load_dword v5, v[0:1], off
	global_load_dword v59, v[8:9], off offset:384
	global_load_dword v8, v[2:3], off
	v_add_co_u32 v0, vcc_lo, v2, s8
	v_add_co_ci_u32_e32 v1, vcc_lo, s9, v3, vcc_lo
	s_clause 0x1
	global_load_dword v55, v[10:11], off offset:1792
	global_load_dword v56, v[10:11], off offset:640
	v_add_co_u32 v2, vcc_lo, v0, s8
	v_add_co_ci_u32_e32 v3, vcc_lo, s9, v1, vcc_lo
	global_load_dword v0, v[0:1], off
	global_load_dword v1, v[2:3], off
	global_load_dword v54, v[6:7], off offset:896
	s_load_dwordx4 s[8:11], s[10:11], 0x0
	v_add_nc_u32_e32 v103, 0x800, v97
	v_add_nc_u32_e32 v88, 0x2400, v97
	;; [unrolled: 1-line block ×5, first 2 shown]
	v_cmp_gt_u16_e32 vcc_lo, 60, v49
	s_waitcnt vmcnt(57)
	v_lshrrev_b32_e32 v2, 16, v19
	v_mul_f16_sdwa v3, v101, v19 dst_sel:DWORD dst_unused:UNUSED_PAD src0_sel:WORD_1 src1_sel:DWORD
	s_waitcnt vmcnt(56)
	v_lshrrev_b32_e32 v6, 16, v22
	v_mul_f16_sdwa v7, v84, v22 dst_sel:DWORD dst_unused:UNUSED_PAD src0_sel:WORD_1 src1_sel:DWORD
	v_mul_f16_sdwa v99, v101, v2 dst_sel:DWORD dst_unused:UNUSED_PAD src0_sel:WORD_1 src1_sel:DWORD
	v_fma_f16 v2, v101, v2, -v3
	s_waitcnt vmcnt(55)
	v_lshrrev_b32_e32 v3, 16, v23
	v_mul_f16_sdwa v108, v84, v6 dst_sel:DWORD dst_unused:UNUSED_PAD src0_sel:WORD_1 src1_sel:DWORD
	v_fma_f16 v6, v84, v6, -v7
	v_fmac_f16_e32 v99, v101, v19
	v_fmac_f16_e32 v108, v84, v22
	v_pack_b32_f16 v2, v99, v2
	v_add_nc_u32_e32 v99, 0x1400, v97
	v_pack_b32_f16 v6, v108, v6
	s_waitcnt vmcnt(54)
	v_lshrrev_b32_e32 v9, 16, v24
	s_waitcnt vmcnt(53)
	v_lshrrev_b32_e32 v11, 16, v25
	s_waitcnt vmcnt(52)
	v_mul_f16_sdwa v10, v81, v24 dst_sel:DWORD dst_unused:UNUSED_PAD src0_sel:WORD_1 src1_sel:DWORD
	v_mul_f16_sdwa v7, v81, v9 dst_sel:DWORD dst_unused:UNUSED_PAD src0_sel:WORD_1 src1_sel:DWORD
	v_fma_f16 v9, v81, v9, -v10
	v_fmac_f16_e32 v7, v81, v24
	v_pack_b32_f16 v7, v7, v9
	s_waitcnt vmcnt(51)
	v_mul_f16_sdwa v37, v73, v25 dst_sel:DWORD dst_unused:UNUSED_PAD src0_sel:WORD_1 src1_sel:DWORD
	s_waitcnt vmcnt(50)
	v_lshrrev_b32_e32 v38, 16, v26
	v_mul_f16_sdwa v10, v73, v11 dst_sel:DWORD dst_unused:UNUSED_PAD src0_sel:WORD_1 src1_sel:DWORD
	v_fma_f16 v11, v73, v11, -v37
	v_fmac_f16_e32 v10, v73, v25
	s_waitcnt vmcnt(49)
	v_mul_f16_sdwa v39, v66, v26 dst_sel:DWORD dst_unused:UNUSED_PAD src0_sel:WORD_1 src1_sel:DWORD
	s_waitcnt vmcnt(48)
	v_lshrrev_b32_e32 v41, 16, v14
	v_mul_f16_sdwa v37, v66, v38 dst_sel:DWORD dst_unused:UNUSED_PAD src0_sel:WORD_1 src1_sel:DWORD
	v_pack_b32_f16 v9, v10, v11
	s_waitcnt vmcnt(47)
	v_mul_f16_sdwa v42, v62, v14 dst_sel:DWORD dst_unused:UNUSED_PAD src0_sel:WORD_1 src1_sel:DWORD
	s_waitcnt vmcnt(46)
	v_lshrrev_b32_e32 v50, 16, v15
	s_waitcnt vmcnt(45)
	v_mul_f16_sdwa v51, v57, v15 dst_sel:DWORD dst_unused:UNUSED_PAD src0_sel:WORD_1 src1_sel:DWORD
	s_waitcnt vmcnt(44)
	v_lshrrev_b32_e32 v52, 16, v16
	s_waitcnt vmcnt(43)
	v_mul_f16_sdwa v89, v95, v16 dst_sel:DWORD dst_unused:UNUSED_PAD src0_sel:WORD_1 src1_sel:DWORD
	v_fma_f16 v38, v66, v38, -v39
	s_waitcnt vmcnt(41)
	v_mul_f16_sdwa v104, v102, v23 dst_sel:DWORD dst_unused:UNUSED_PAD src0_sel:WORD_1 src1_sel:DWORD
	v_mul_f16_sdwa v39, v62, v41 dst_sel:DWORD dst_unused:UNUSED_PAD src0_sel:WORD_1 src1_sel:DWORD
	v_fma_f16 v41, v62, v41, -v42
	v_mul_f16_sdwa v42, v57, v50 dst_sel:DWORD dst_unused:UNUSED_PAD src0_sel:WORD_1 src1_sel:DWORD
	v_fma_f16 v50, v57, v50, -v51
	;; [unrolled: 2-line block ×4, first 2 shown]
	v_fmac_f16_e32 v39, v62, v14
	s_waitcnt vmcnt(40)
	v_lshrrev_b32_e32 v89, 16, v17
	s_waitcnt vmcnt(39)
	v_mul_f16_sdwa v104, v100, v17 dst_sel:DWORD dst_unused:UNUSED_PAD src0_sel:WORD_1 src1_sel:DWORD
	v_fmac_f16_e32 v51, v95, v16
	v_fmac_f16_e32 v19, v102, v23
	;; [unrolled: 1-line block ×3, first 2 shown]
	v_mul_f16_sdwa v14, v100, v89 dst_sel:DWORD dst_unused:UNUSED_PAD src0_sel:WORD_1 src1_sel:DWORD
	v_fma_f16 v15, v100, v89, -v104
	v_pack_b32_f16 v24, v51, v52
	v_pack_b32_f16 v3, v19, v3
	ds_write_b32 v97, v6 offset:9216
	ds_write_b32 v97, v24 offset:4608
	;; [unrolled: 1-line block ×3, first 2 shown]
	s_waitcnt vmcnt(37)
	v_lshrrev_b32_e32 v16, 16, v18
	v_mul_f16_sdwa v22, v96, v18 dst_sel:DWORD dst_unused:UNUSED_PAD src0_sel:WORD_1 src1_sel:DWORD
	v_fmac_f16_e32 v14, v100, v17
	s_waitcnt vmcnt(36)
	v_lshrrev_b32_e32 v19, 16, v27
	v_pack_b32_f16 v11, v39, v41
	v_mul_f16_sdwa v17, v96, v16 dst_sel:DWORD dst_unused:UNUSED_PAD src0_sel:WORD_1 src1_sel:DWORD
	v_fma_f16 v16, v96, v16, -v22
	v_pack_b32_f16 v3, v14, v15
	v_pack_b32_f16 v23, v42, v50
	s_waitcnt vmcnt(35)
	v_mul_f16_sdwa v22, v92, v27 dst_sel:DWORD dst_unused:UNUSED_PAD src0_sel:WORD_1 src1_sel:DWORD
	v_fmac_f16_e32 v17, v96, v18
	v_mul_f16_sdwa v6, v92, v19 dst_sel:DWORD dst_unused:UNUSED_PAD src0_sel:WORD_1 src1_sel:DWORD
	ds_write_b32 v97, v3 offset:2304
	v_fmac_f16_e32 v37, v66, v26
	v_fma_f16 v14, v92, v19, -v22
	v_pack_b32_f16 v3, v17, v16
	v_fmac_f16_e32 v6, v92, v27
	v_add_nc_u32_e32 v104, 0xc00, v97
	v_add_nc_u32_e32 v89, 0x2600, v97
	v_pack_b32_f16 v10, v37, v38
	s_waitcnt vmcnt(34)
	v_lshrrev_b32_e32 v15, 16, v28
	s_waitcnt vmcnt(33)
	v_mul_f16_sdwa v18, v90, v28 dst_sel:DWORD dst_unused:UNUSED_PAD src0_sel:WORD_1 src1_sel:DWORD
	s_waitcnt vmcnt(32)
	v_lshrrev_b32_e32 v17, 16, v29
	ds_write_b32 v97, v3 offset:3456
	v_pack_b32_f16 v3, v6, v14
	v_mul_f16_sdwa v16, v90, v15 dst_sel:DWORD dst_unused:UNUSED_PAD src0_sel:WORD_1 src1_sel:DWORD
	v_fma_f16 v15, v90, v15, -v18
	s_waitcnt vmcnt(31)
	v_lshrrev_b32_e32 v14, 16, v30
	s_waitcnt vmcnt(30)
	v_mul_f16_sdwa v18, v87, v29 dst_sel:DWORD dst_unused:UNUSED_PAD src0_sel:WORD_1 src1_sel:DWORD
	v_mul_f16_sdwa v6, v87, v17 dst_sel:DWORD dst_unused:UNUSED_PAD src0_sel:WORD_1 src1_sel:DWORD
	v_fmac_f16_e32 v16, v90, v28
	ds_write_b32 v97, v3 offset:5760
	s_waitcnt vmcnt(28)
	v_mul_f16_sdwa v19, v85, v14 dst_sel:DWORD dst_unused:UNUSED_PAD src0_sel:WORD_1 src1_sel:DWORD
	v_fma_f16 v17, v87, v17, -v18
	v_mul_f16_sdwa v18, v85, v30 dst_sel:DWORD dst_unused:UNUSED_PAD src0_sel:WORD_1 src1_sel:DWORD
	v_fmac_f16_e32 v6, v87, v29
	v_pack_b32_f16 v3, v16, v15
	v_fmac_f16_e32 v19, v85, v30
	s_waitcnt vmcnt(27)
	v_lshrrev_b32_e32 v15, 16, v31
	v_fma_f16 v14, v85, v14, -v18
	v_pack_b32_f16 v6, v6, v17
	ds_write_b32 v97, v3 offset:6912
	v_mul_f16_sdwa v3, v83, v31 dst_sel:DWORD dst_unused:UNUSED_PAD src0_sel:WORD_1 src1_sel:DWORD
	s_waitcnt vmcnt(26)
	v_lshrrev_b32_e32 v16, 16, v32
	ds_write_b32 v97, v6 offset:8064
	v_pack_b32_f16 v6, v19, v14
	v_mul_f16_sdwa v14, v83, v15 dst_sel:DWORD dst_unused:UNUSED_PAD src0_sel:WORD_1 src1_sel:DWORD
	v_fma_f16 v3, v83, v15, -v3
	s_waitcnt vmcnt(24)
	v_mul_f16_sdwa v15, v80, v32 dst_sel:DWORD dst_unused:UNUSED_PAD src0_sel:WORD_1 src1_sel:DWORD
	s_waitcnt vmcnt(23)
	v_lshrrev_b32_e32 v17, 16, v33
	ds_write_b32 v97, v6 offset:10368
	v_fmac_f16_e32 v14, v83, v31
	v_mul_f16_sdwa v6, v80, v16 dst_sel:DWORD dst_unused:UNUSED_PAD src0_sel:WORD_1 src1_sel:DWORD
	v_mul_f16_sdwa v18, v77, v33 dst_sel:DWORD dst_unused:UNUSED_PAD src0_sel:WORD_1 src1_sel:DWORD
	v_fma_f16 v15, v80, v16, -v15
	v_pack_b32_f16 v3, v14, v3
	v_fmac_f16_e32 v6, v80, v32
	v_mul_f16_sdwa v14, v77, v17 dst_sel:DWORD dst_unused:UNUSED_PAD src0_sel:WORD_1 src1_sel:DWORD
	v_fma_f16 v16, v77, v17, -v18
	s_waitcnt vmcnt(22)
	v_lshrrev_b32_e32 v17, 16, v34
	s_waitcnt vmcnt(21)
	v_mul_f16_sdwa v18, v75, v34 dst_sel:DWORD dst_unused:UNUSED_PAD src0_sel:WORD_1 src1_sel:DWORD
	ds_write2_b32 v97, v2, v3 offset1:96
	v_pack_b32_f16 v2, v6, v15
	v_fmac_f16_e32 v14, v77, v33
	v_mul_f16_sdwa v3, v75, v17 dst_sel:DWORD dst_unused:UNUSED_PAD src0_sel:WORD_1 src1_sel:DWORD
	s_waitcnt vmcnt(20)
	v_lshrrev_b32_e32 v6, 16, v35
	v_fma_f16 v15, v75, v17, -v18
	s_waitcnt vmcnt(19)
	v_mul_f16_sdwa v17, v72, v35 dst_sel:DWORD dst_unused:UNUSED_PAD src0_sel:WORD_1 src1_sel:DWORD
	v_pack_b32_f16 v14, v14, v16
	v_fmac_f16_e32 v3, v75, v34
	v_mul_f16_sdwa v16, v72, v6 dst_sel:DWORD dst_unused:UNUSED_PAD src0_sel:WORD_1 src1_sel:DWORD
	s_waitcnt vmcnt(18)
	v_lshrrev_b32_e32 v18, 16, v20
	v_fma_f16 v6, v72, v6, -v17
	s_waitcnt vmcnt(16)
	v_mul_f16_sdwa v17, v70, v20 dst_sel:DWORD dst_unused:UNUSED_PAD src0_sel:WORD_1 src1_sel:DWORD
	ds_write2_b32 v107, v2, v11 offset0:32 offset1:128
	v_pack_b32_f16 v2, v3, v15
	v_mul_f16_sdwa v3, v70, v18 dst_sel:DWORD dst_unused:UNUSED_PAD src0_sel:WORD_1 src1_sel:DWORD
	v_lshrrev_b32_e32 v11, 16, v21
	v_fmac_f16_e32 v16, v72, v35
	s_waitcnt vmcnt(15)
	v_mul_f16_sdwa v15, v69, v21 dst_sel:DWORD dst_unused:UNUSED_PAD src0_sel:WORD_1 src1_sel:DWORD
	v_fma_f16 v17, v70, v18, -v17
	v_fmac_f16_e32 v3, v70, v20
	v_mul_f16_sdwa v18, v69, v11 dst_sel:DWORD dst_unused:UNUSED_PAD src0_sel:WORD_1 src1_sel:DWORD
	v_pack_b32_f16 v6, v16, v6
	v_fma_f16 v11, v69, v11, -v15
	s_waitcnt vmcnt(14)
	v_lshrrev_b32_e32 v15, 16, v12
	v_pack_b32_f16 v3, v3, v17
	v_fmac_f16_e32 v18, v69, v21
	s_waitcnt vmcnt(13)
	v_mul_f16_sdwa v16, v65, v12 dst_sel:DWORD dst_unused:UNUSED_PAD src0_sel:WORD_1 src1_sel:DWORD
	ds_write2_b32 v91, v6, v23 offset0:32 offset1:128
	v_mul_f16_sdwa v6, v65, v15 dst_sel:DWORD dst_unused:UNUSED_PAD src0_sel:WORD_1 src1_sel:DWORD
	s_waitcnt vmcnt(12)
	v_lshrrev_b32_e32 v17, 16, v13
	v_pack_b32_f16 v11, v18, v11
	v_fma_f16 v15, v65, v15, -v16
	v_mul_f16_sdwa v16, v64, v13 dst_sel:DWORD dst_unused:UNUSED_PAD src0_sel:WORD_1 src1_sel:DWORD
	v_fmac_f16_e32 v6, v65, v12
	v_mul_f16_sdwa v12, v64, v17 dst_sel:DWORD dst_unused:UNUSED_PAD src0_sel:WORD_1 src1_sel:DWORD
	s_waitcnt vmcnt(11)
	v_lshrrev_b32_e32 v18, 16, v36
	s_waitcnt vmcnt(9)
	v_mul_f16_sdwa v19, v61, v36 dst_sel:DWORD dst_unused:UNUSED_PAD src0_sel:WORD_1 src1_sel:DWORD
	v_fma_f16 v16, v64, v17, -v16
	v_pack_b32_f16 v6, v6, v15
	v_fmac_f16_e32 v12, v64, v13
	v_mul_f16_sdwa v13, v61, v18 dst_sel:DWORD dst_unused:UNUSED_PAD src0_sel:WORD_1 src1_sel:DWORD
	v_fma_f16 v15, v61, v18, -v19
	s_waitcnt vmcnt(8)
	v_lshrrev_b32_e32 v17, 16, v4
	v_mul_f16_sdwa v18, v60, v4 dst_sel:DWORD dst_unused:UNUSED_PAD src0_sel:WORD_1 src1_sel:DWORD
	ds_write_b32 v97, v6 offset:768
	v_pack_b32_f16 v6, v12, v16
	v_fmac_f16_e32 v13, v61, v36
	v_mul_f16_sdwa v12, v60, v17 dst_sel:DWORD dst_unused:UNUSED_PAD src0_sel:WORD_1 src1_sel:DWORD
	v_fma_f16 v16, v60, v17, -v18
	s_waitcnt vmcnt(7)
	v_lshrrev_b32_e32 v17, 16, v5
	ds_write2_b32 v82, v7, v6 offset0:128 offset1:224
	v_pack_b32_f16 v6, v13, v15
	v_fmac_f16_e32 v12, v60, v4
	s_waitcnt vmcnt(5)
	v_lshrrev_b32_e32 v13, 16, v8
	v_mul_f16_sdwa v4, v59, v17 dst_sel:DWORD dst_unused:UNUSED_PAD src0_sel:WORD_1 src1_sel:DWORD
	v_mul_f16_sdwa v18, v59, v5 dst_sel:DWORD dst_unused:UNUSED_PAD src0_sel:WORD_1 src1_sel:DWORD
	s_waitcnt vmcnt(3)
	v_mul_f16_sdwa v15, v56, v8 dst_sel:DWORD dst_unused:UNUSED_PAD src0_sel:WORD_1 src1_sel:DWORD
	ds_write2_b32 v79, v14, v6 offset0:64 offset1:160
	s_waitcnt vmcnt(1)
	v_lshrrev_b32_e32 v14, 16, v1
	v_fmac_f16_e32 v4, v59, v5
	v_lshrrev_b32_e32 v5, 16, v0
	v_mul_f16_sdwa v6, v56, v13 dst_sel:DWORD dst_unused:UNUSED_PAD src0_sel:WORD_1 src1_sel:DWORD
	v_fma_f16 v7, v59, v17, -v18
	v_fma_f16 v13, v56, v13, -v15
	v_mul_f16_sdwa v15, v55, v0 dst_sel:DWORD dst_unused:UNUSED_PAD src0_sel:WORD_1 src1_sel:DWORD
	v_mul_f16_sdwa v17, v55, v5 dst_sel:DWORD dst_unused:UNUSED_PAD src0_sel:WORD_1 src1_sel:DWORD
	s_waitcnt vmcnt(0)
	v_mul_f16_sdwa v18, v54, v1 dst_sel:DWORD dst_unused:UNUSED_PAD src0_sel:WORD_1 src1_sel:DWORD
	v_mul_f16_sdwa v19, v54, v14 dst_sel:DWORD dst_unused:UNUSED_PAD src0_sel:WORD_1 src1_sel:DWORD
	v_fmac_f16_e32 v6, v56, v8
	v_fma_f16 v5, v55, v5, -v15
	v_fmac_f16_e32 v17, v55, v0
	v_fma_f16 v0, v54, v14, -v18
	v_fmac_f16_e32 v19, v54, v1
	v_pack_b32_f16 v1, v12, v16
	v_pack_b32_f16 v4, v4, v7
	;; [unrolled: 1-line block ×5, first 2 shown]
	ds_write2_b32 v106, v2, v1 offset0:96 offset1:192
	ds_write2_b32 v76, v9, v4 offset1:96
	ds_write2_b32 v71, v3, v6 offset0:64 offset1:160
	ds_write2_b32 v88, v11, v5 offset0:96 offset1:192
	;; [unrolled: 1-line block ×3, first 2 shown]
	s_waitcnt lgkmcnt(0)
	s_barrier
	buffer_gl0_inv
	ds_read2_b32 v[6:7], v97 offset1:96
	ds_read2_b32 v[0:1], v105 offset0:64 offset1:160
	ds_read2_b32 v[16:17], v103 offset0:64 offset1:160
	;; [unrolled: 1-line block ×3, first 2 shown]
	ds_read2_b32 v[12:13], v88 offset1:96
	ds_read2_b32 v[14:15], v93 offset0:64 offset1:160
	ds_read2_b32 v[8:9], v104 offset1:96
	ds_read2_b32 v[10:11], v99 offset0:64 offset1:160
	ds_read2_b32 v[2:3], v89 offset0:64 offset1:160
	;; [unrolled: 1-line block ×3, first 2 shown]
	s_waitcnt lgkmcnt(9)
	v_lshrrev_b32_e32 v20, 16, v6
	s_waitcnt lgkmcnt(8)
	v_lshrrev_b32_e32 v26, 16, v1
	v_lshrrev_b32_e32 v121, 16, v0
	s_waitcnt lgkmcnt(6)
	v_sub_f16_e32 v31, v18, v16
	s_waitcnt lgkmcnt(5)
	v_add_f16_e32 v30, v16, v12
	s_waitcnt lgkmcnt(4)
	v_add_f16_sdwa v33, v18, v14 dst_sel:DWORD dst_unused:UNUSED_PAD src0_sel:WORD_1 src1_sel:WORD_1
	s_waitcnt lgkmcnt(1)
	v_add_f16_e32 v37, v9, v3
	v_sub_f16_e32 v32, v14, v12
	v_add_f16_sdwa v34, v16, v12 dst_sel:DWORD dst_unused:UNUSED_PAD src0_sel:WORD_1 src1_sel:WORD_1
	v_sub_f16_sdwa v35, v18, v16 dst_sel:DWORD dst_unused:UNUSED_PAD src0_sel:WORD_1 src1_sel:WORD_1
	v_sub_f16_sdwa v36, v14, v12 dst_sel:DWORD dst_unused:UNUSED_PAD src0_sel:WORD_1 src1_sel:WORD_1
	s_waitcnt lgkmcnt(0)
	v_sub_f16_sdwa v25, v11, v5 dst_sel:DWORD dst_unused:UNUSED_PAD src0_sel:WORD_1 src1_sel:WORD_1
	v_sub_f16_e32 v38, v11, v9
	v_sub_f16_e32 v39, v5, v3
	v_add_f16_sdwa v41, v11, v5 dst_sel:DWORD dst_unused:UNUSED_PAD src0_sel:WORD_1 src1_sel:WORD_1
	v_add_f16_sdwa v42, v9, v3 dst_sel:DWORD dst_unused:UNUSED_PAD src0_sel:WORD_1 src1_sel:WORD_1
	v_fma_f16 v111, -0.5, v33, v20
	v_fma_f16 v33, -0.5, v37, v1
	v_sub_f16_sdwa v27, v9, v3 dst_sel:DWORD dst_unused:UNUSED_PAD src0_sel:WORD_1 src1_sel:WORD_1
	v_sub_f16_e32 v28, v11, v5
	v_fma_f16 v109, -0.5, v30, v6
	v_add_f16_e32 v30, v31, v32
	v_add_f16_sdwa v31, v20, v16 dst_sel:DWORD dst_unused:UNUSED_PAD src0_sel:DWORD src1_sel:WORD_1
	v_fmac_f16_e32 v20, -0.5, v34
	v_add_f16_e32 v32, v35, v36
	v_add_f16_e32 v34, v38, v39
	v_add_f16_sdwa v35, v26, v9 dst_sel:DWORD dst_unused:UNUSED_PAD src0_sel:DWORD src1_sel:WORD_1
	v_fma_f16 v38, -0.5, v41, v26
	v_fmac_f16_e32 v26, -0.5, v42
	v_fmamk_f16 v37, v25, 0xbb9c, v33
	v_sub_f16_e32 v29, v9, v3
	v_sub_f16_sdwa v50, v11, v9 dst_sel:DWORD dst_unused:UNUSED_PAD src0_sel:WORD_1 src1_sel:WORD_1
	v_sub_f16_sdwa v51, v5, v3 dst_sel:DWORD dst_unused:UNUSED_PAD src0_sel:WORD_1 src1_sel:WORD_1
	v_fmamk_f16 v42, v28, 0x3b9c, v26
	v_fmac_f16_e32 v26, 0xbb9c, v28
	v_fmac_f16_e32 v37, 0x38b4, v27
	;; [unrolled: 1-line block ×3, first 2 shown]
	v_add_f16_e32 v36, v50, v51
	v_fmac_f16_e32 v42, 0xb8b4, v29
	v_fmac_f16_e32 v26, 0x38b4, v29
	;; [unrolled: 1-line block ×3, first 2 shown]
	v_add_f16_e32 v108, v11, v5
	v_fmac_f16_e32 v33, 0xb8b4, v27
	v_fmac_f16_e32 v42, 0x34f2, v36
	;; [unrolled: 1-line block ×3, first 2 shown]
	v_mul_f16_e32 v114, 0xbb9c, v37
	v_sub_f16_e32 v36, v3, v5
	v_fmac_f16_e32 v33, 0x34f2, v34
	v_mul_f16_e32 v51, 0x3b9c, v42
	v_mul_f16_e32 v113, 0xb4f2, v26
	v_fmac_f16_e32 v114, 0x34f2, v42
	v_fma_f16 v42, -0.5, v108, v1
	v_sub_f16_e32 v34, v9, v11
	v_sub_f16_e32 v52, v16, v18
	v_mul_f16_e32 v112, 0xb4f2, v33
	v_fmac_f16_e32 v113, 0xbb9c, v33
	v_sub_f16_e32 v33, v12, v14
	v_fmamk_f16 v50, v27, 0x3b9c, v42
	v_add_f16_e32 v115, v34, v36
	v_add_f16_e32 v36, v18, v14
	v_sub_f16_sdwa v22, v16, v12 dst_sel:DWORD dst_unused:UNUSED_PAD src0_sel:WORD_1 src1_sel:WORD_1
	v_sub_f16_sdwa v21, v18, v14 dst_sel:DWORD dst_unused:UNUSED_PAD src0_sel:WORD_1 src1_sel:WORD_1
	v_sub_f16_e32 v24, v16, v12
	v_sub_f16_e32 v23, v18, v14
	v_fmac_f16_e32 v51, 0x34f2, v37
	v_sub_f16_sdwa v37, v9, v11 dst_sel:DWORD dst_unused:UNUSED_PAD src0_sel:WORD_1 src1_sel:WORD_1
	v_sub_f16_sdwa v108, v3, v5 dst_sel:DWORD dst_unused:UNUSED_PAD src0_sel:WORD_1 src1_sel:WORD_1
	v_fmamk_f16 v110, v29, 0xbb9c, v38
	v_add_f16_e32 v52, v52, v33
	v_fmac_f16_e32 v50, 0x38b4, v25
	v_add_f16_e32 v33, v6, v16
	v_fma_f16 v118, -0.5, v36, v6
	v_add_f16_e32 v1, v1, v9
	v_fmamk_f16 v39, v21, 0xbb9c, v109
	v_fmac_f16_e32 v109, 0x3b9c, v21
	v_fmamk_f16 v41, v23, 0x3b9c, v20
	v_fmac_f16_e32 v20, 0xbb9c, v23
	v_add_f16_e32 v108, v37, v108
	v_fmac_f16_e32 v110, 0xb8b4, v28
	v_sub_f16_sdwa v16, v16, v18 dst_sel:DWORD dst_unused:UNUSED_PAD src0_sel:WORD_1 src1_sel:WORD_1
	v_fmac_f16_e32 v50, 0x34f2, v115
	v_sub_f16_sdwa v34, v12, v14 dst_sel:DWORD dst_unused:UNUSED_PAD src0_sel:WORD_1 src1_sel:WORD_1
	v_add_f16_e32 v33, v33, v18
	v_fmamk_f16 v119, v22, 0x3b9c, v118
	v_fmamk_f16 v120, v24, 0xbb9c, v111
	v_add_f16_sdwa v6, v31, v18 dst_sel:DWORD dst_unused:UNUSED_PAD src0_sel:DWORD src1_sel:WORD_1
	v_add_f16_e32 v1, v1, v11
	v_add_f16_sdwa v11, v35, v11 dst_sel:DWORD dst_unused:UNUSED_PAD src0_sel:DWORD src1_sel:WORD_1
	v_fmac_f16_e32 v42, 0xbb9c, v27
	v_fmac_f16_e32 v38, 0x3b9c, v29
	;; [unrolled: 1-line block ×7, first 2 shown]
	v_mul_f16_e32 v116, 0x3a79, v50
	v_mul_f16_e32 v117, 0xb8b4, v50
	v_add_f16_e32 v16, v16, v34
	v_add_f16_e32 v33, v33, v14
	v_fmac_f16_e32 v119, 0x38b4, v21
	v_fmac_f16_e32 v120, 0xb8b4, v23
	v_add_f16_sdwa v6, v6, v14 dst_sel:DWORD dst_unused:UNUSED_PAD src0_sel:DWORD src1_sel:WORD_1
	v_add_f16_e32 v1, v1, v5
	v_add_f16_sdwa v5, v11, v5 dst_sel:DWORD dst_unused:UNUSED_PAD src0_sel:DWORD src1_sel:WORD_1
	v_fmac_f16_e32 v42, 0xb8b4, v25
	v_fmac_f16_e32 v38, 0x38b4, v28
	;; [unrolled: 1-line block ×9, first 2 shown]
	v_add_f16_e32 v9, v33, v12
	v_fmac_f16_e32 v119, 0x34f2, v52
	v_fmac_f16_e32 v120, 0x34f2, v16
	v_add_f16_sdwa v14, v6, v12 dst_sel:DWORD dst_unused:UNUSED_PAD src0_sel:DWORD src1_sel:WORD_1
	v_add_f16_e32 v1, v1, v3
	v_add_f16_sdwa v3, v5, v3 dst_sel:DWORD dst_unused:UNUSED_PAD src0_sel:DWORD src1_sel:WORD_1
	v_fmac_f16_e32 v118, 0xbb9c, v22
	v_fmac_f16_e32 v111, 0x3b9c, v24
	;; [unrolled: 1-line block ×4, first 2 shown]
	v_add_f16_e32 v26, v39, v51
	v_add_f16_e32 v30, v109, v112
	;; [unrolled: 1-line block ×8, first 2 shown]
	v_mul_lo_u16 v33, v49, 10
	v_mov_b32_e32 v50, 2
	v_fmac_f16_e32 v118, 0xb8b4, v21
	v_fmac_f16_e32 v111, 0x38b4, v23
	v_mul_f16_e32 v25, 0xba79, v42
	v_mul_f16_e32 v28, 0xba79, v38
	v_pack_b32_f16 v6, v30, v32
	v_pack_b32_f16 v5, v26, v5
	;; [unrolled: 1-line block ×4, first 2 shown]
	v_lshlrev_b32_sdwa v110, v50, v33 dst_sel:DWORD dst_unused:UNUSED_PAD src0_sel:DWORD src1_sel:WORD_0
	ds_read2_b32 v[30:31], v82 offset0:128 offset1:224
	ds_read2_b32 v[32:33], v79 offset0:64 offset1:160
	ds_read2_b32 v[34:35], v76 offset1:96
	ds_read2_b32 v[26:27], v71 offset0:64 offset1:160
	ds_read2_b32 v[36:37], v68 offset0:128 offset1:224
	v_fmac_f16_e32 v118, 0x34f2, v52
	v_fmac_f16_e32 v111, 0x34f2, v16
	;; [unrolled: 1-line block ×4, first 2 shown]
	v_sub_f16_e32 v18, v119, v116
	v_sub_f16_e32 v22, v39, v51
	;; [unrolled: 1-line block ×5, first 2 shown]
	v_add_f16_e32 v9, v118, v25
	v_add_f16_e32 v24, v111, v28
	v_sub_f16_e32 v3, v14, v3
	v_pack_b32_f16 v21, v18, v16
	v_pack_b32_f16 v22, v22, v23
	s_waitcnt lgkmcnt(0)
	v_pack_b32_f16 v23, v9, v24
	v_pack_b32_f16 v24, v1, v3
	s_barrier
	buffer_gl0_inv
	ds_write2_b64 v110, v[11:12], v[5:6] offset1:1
	ds_write2_b64 v110, v[23:24], v[21:22] offset0:2 offset1:3
	v_add_f16_e32 v5, v19, v15
	v_add_f16_e32 v22, v17, v13
	v_sub_f16_e32 v38, v26, v36
	v_lshrrev_b32_e32 v39, 16, v30
	v_add_f16_sdwa v41, v34, v26 dst_sel:DWORD dst_unused:UNUSED_PAD src0_sel:WORD_1 src1_sel:WORD_1
	v_fma_f16 v29, -0.5, v5, v7
	v_sub_f16_e32 v5, v34, v32
	v_add_f16_e32 v42, v32, v36
	v_lshrrev_b32_e32 v14, 16, v7
	v_add_f16_e32 v1, v7, v17
	v_fmac_f16_e32 v7, -0.5, v22
	v_add_f16_e32 v5, v5, v38
	v_add_f16_sdwa v22, v32, v36 dst_sel:DWORD dst_unused:UNUSED_PAD src0_sel:WORD_1 src1_sel:WORD_1
	v_fma_f16 v38, -0.5, v41, v39
	v_fma_f16 v41, -0.5, v42, v30
	v_sub_f16_sdwa v42, v34, v26 dst_sel:DWORD dst_unused:UNUSED_PAD src0_sel:WORD_1 src1_sel:WORD_1
	v_add_f16_sdwa v51, v39, v32 dst_sel:DWORD dst_unused:UNUSED_PAD src0_sel:DWORD src1_sel:WORD_1
	v_fmac_f16_e32 v39, -0.5, v22
	v_sub_f16_e32 v52, v34, v26
	v_sub_f16_sdwa v114, v32, v36 dst_sel:DWORD dst_unused:UNUSED_PAD src0_sel:WORD_1 src1_sel:WORD_1
	v_fmamk_f16 v108, v42, 0xbb9c, v41
	v_fmac_f16_e32 v41, 0x3b9c, v42
	v_sub_f16_sdwa v6, v19, v15 dst_sel:DWORD dst_unused:UNUSED_PAD src0_sel:WORD_1 src1_sel:WORD_1
	v_sub_f16_sdwa v22, v34, v32 dst_sel:DWORD dst_unused:UNUSED_PAD src0_sel:WORD_1 src1_sel:WORD_1
	;; [unrolled: 1-line block ×3, first 2 shown]
	v_fmamk_f16 v116, v52, 0x3b9c, v39
	v_fmac_f16_e32 v39, 0xbb9c, v52
	v_sub_f16_e32 v117, v32, v36
	v_fmac_f16_e32 v41, 0xb8b4, v114
	v_add_f16_sdwa v3, v14, v17 dst_sel:DWORD dst_unused:UNUSED_PAD src0_sel:DWORD src1_sel:WORD_1
	v_sub_f16_e32 v11, v19, v17
	v_sub_f16_sdwa v21, v17, v13 dst_sel:DWORD dst_unused:UNUSED_PAD src0_sel:WORD_1 src1_sel:WORD_1
	v_sub_f16_e32 v24, v15, v13
	v_add_f16_e32 v22, v22, v115
	v_fmamk_f16 v115, v6, 0xbb9c, v7
	v_fmac_f16_e32 v7, 0x3b9c, v6
	v_fmac_f16_e32 v39, 0x38b4, v117
	;; [unrolled: 1-line block ×3, first 2 shown]
	v_add_f16_e32 v1, v1, v19
	v_add_f16_sdwa v3, v3, v19 dst_sel:DWORD dst_unused:UNUSED_PAD src0_sel:DWORD src1_sel:WORD_1
	v_add_f16_e32 v11, v11, v24
	v_fmac_f16_e32 v7, 0xb8b4, v21
	v_fmac_f16_e32 v39, 0x34f2, v22
	v_mul_f16_e32 v24, 0xb4f2, v41
	v_add_f16_e32 v1, v1, v15
	v_add_f16_sdwa v3, v3, v15 dst_sel:DWORD dst_unused:UNUSED_PAD src0_sel:DWORD src1_sel:WORD_1
	v_fmac_f16_e32 v7, 0x34f2, v11
	v_add_f16_e32 v123, v0, v8
	v_fmac_f16_e32 v24, 0x3b9c, v39
	v_add_f16_sdwa v124, v121, v8 dst_sel:DWORD dst_unused:UNUSED_PAD src0_sel:DWORD src1_sel:WORD_1
	v_sub_f16_e32 v9, v17, v19
	v_add_f16_sdwa v12, v19, v15 dst_sel:DWORD dst_unused:UNUSED_PAD src0_sel:WORD_1 src1_sel:WORD_1
	v_sub_f16_e32 v16, v19, v15
	v_sub_f16_sdwa v18, v17, v19 dst_sel:DWORD dst_unused:UNUSED_PAD src0_sel:WORD_1 src1_sel:WORD_1
	v_sub_f16_sdwa v19, v19, v17 dst_sel:DWORD dst_unused:UNUSED_PAD src0_sel:WORD_1 src1_sel:WORD_1
	v_sub_f16_e32 v23, v17, v13
	v_add_f16_sdwa v17, v17, v13 dst_sel:DWORD dst_unused:UNUSED_PAD src0_sel:WORD_1 src1_sel:WORD_1
	v_sub_f16_e32 v119, v13, v15
	v_sub_f16_sdwa v120, v13, v15 dst_sel:DWORD dst_unused:UNUSED_PAD src0_sel:WORD_1 src1_sel:WORD_1
	v_sub_f16_sdwa v15, v15, v13 dst_sel:DWORD dst_unused:UNUSED_PAD src0_sel:WORD_1 src1_sel:WORD_1
	v_add_f16_e32 v122, v1, v13
	v_add_f16_sdwa v13, v3, v13 dst_sel:DWORD dst_unused:UNUSED_PAD src0_sel:DWORD src1_sel:WORD_1
	v_add_f16_e32 v125, v7, v24
	v_sub_f16_e32 v1, v7, v24
	v_add_f16_e32 v3, v123, v10
	v_add_f16_sdwa v7, v124, v10 dst_sel:DWORD dst_unused:UNUSED_PAD src0_sel:DWORD src1_sel:WORD_1
	v_lshrrev_b32_e32 v136, 16, v31
	v_add_f16_e32 v24, v10, v4
	v_sub_f16_sdwa v123, v10, v4 dst_sel:DWORD dst_unused:UNUSED_PAD src0_sel:WORD_1 src1_sel:WORD_1
	v_add_f16_sdwa v127, v10, v4 dst_sel:DWORD dst_unused:UNUSED_PAD src0_sel:WORD_1 src1_sel:WORD_1
	v_sub_f16_e32 v128, v10, v4
	v_add_f16_e32 v3, v3, v4
	v_add_f16_sdwa v7, v7, v4 dst_sel:DWORD dst_unused:UNUSED_PAD src0_sel:DWORD src1_sel:WORD_1
	v_sub_f16_e32 v133, v2, v4
	v_sub_f16_e32 v134, v4, v2
	v_sub_f16_sdwa v135, v2, v4 dst_sel:DWORD dst_unused:UNUSED_PAD src0_sel:WORD_1 src1_sel:WORD_1
	v_sub_f16_sdwa v137, v4, v2 dst_sel:DWORD dst_unused:UNUSED_PAD src0_sel:WORD_1 src1_sel:WORD_1
	v_add_f16_e32 v4, v30, v32
	v_add_f16_sdwa v139, v136, v33 dst_sel:DWORD dst_unused:UNUSED_PAD src0_sel:DWORD src1_sel:WORD_1
	v_sub_f16_e32 v124, v8, v10
	v_sub_f16_e32 v126, v10, v8
	v_sub_f16_sdwa v129, v8, v10 dst_sel:DWORD dst_unused:UNUSED_PAD src0_sel:WORD_1 src1_sel:WORD_1
	v_sub_f16_sdwa v10, v10, v8 dst_sel:DWORD dst_unused:UNUSED_PAD src0_sel:WORD_1 src1_sel:WORD_1
	;; [unrolled: 1-line block ×3, first 2 shown]
	v_add_f16_e32 v131, v8, v2
	v_sub_f16_e32 v132, v8, v2
	v_add_f16_sdwa v8, v8, v2 dst_sel:DWORD dst_unused:UNUSED_PAD src0_sel:WORD_1 src1_sel:WORD_1
	v_add_f16_e32 v138, v3, v2
	v_add_f16_e32 v3, v31, v33
	v_add_f16_sdwa v7, v7, v2 dst_sel:DWORD dst_unused:UNUSED_PAD src0_sel:DWORD src1_sel:WORD_1
	v_add_f16_e32 v2, v4, v34
	v_add_f16_sdwa v4, v51, v34 dst_sel:DWORD dst_unused:UNUSED_PAD src0_sel:DWORD src1_sel:WORD_1
	v_add_f16_sdwa v51, v139, v35 dst_sel:DWORD dst_unused:UNUSED_PAD src0_sel:DWORD src1_sel:WORD_1
	v_add_f16_e32 v139, v34, v26
	v_sub_f16_e32 v140, v32, v34
	v_sub_f16_sdwa v32, v32, v34 dst_sel:DWORD dst_unused:UNUSED_PAD src0_sel:WORD_1 src1_sel:WORD_1
	v_add_f16_e32 v34, v35, v27
	v_add_f16_e32 v148, v33, v37
	;; [unrolled: 1-line block ×3, first 2 shown]
	v_sub_f16_sdwa v141, v35, v27 dst_sel:DWORD dst_unused:UNUSED_PAD src0_sel:WORD_1 src1_sel:WORD_1
	v_sub_f16_e32 v142, v33, v35
	v_sub_f16_e32 v143, v35, v33
	v_add_f16_sdwa v144, v35, v27 dst_sel:DWORD dst_unused:UNUSED_PAD src0_sel:WORD_1 src1_sel:WORD_1
	v_sub_f16_e32 v145, v35, v27
	v_sub_f16_sdwa v146, v33, v35 dst_sel:DWORD dst_unused:UNUSED_PAD src0_sel:WORD_1 src1_sel:WORD_1
	v_sub_f16_sdwa v35, v35, v33 dst_sel:DWORD dst_unused:UNUSED_PAD src0_sel:WORD_1 src1_sel:WORD_1
	;; [unrolled: 1-line block ×3, first 2 shown]
	v_sub_f16_e32 v149, v33, v37
	v_add_f16_sdwa v33, v33, v37 dst_sel:DWORD dst_unused:UNUSED_PAD src0_sel:WORD_1 src1_sel:WORD_1
	v_fma_f16 v34, -0.5, v34, v31
	v_fmac_f16_e32 v31, -0.5, v148
	v_sub_f16_e32 v148, v27, v37
	v_fma_f16 v144, -0.5, v144, v136
	v_fmac_f16_e32 v136, -0.5, v33
	v_sub_f16_sdwa v151, v27, v37 dst_sel:DWORD dst_unused:UNUSED_PAD src0_sel:WORD_1 src1_sel:WORD_1
	v_fmamk_f16 v33, v141, 0xbb9c, v31
	v_fmac_f16_e32 v31, 0x3b9c, v141
	v_add_f16_e32 v143, v143, v148
	v_fmamk_f16 v148, v145, 0x3b9c, v136
	v_fmac_f16_e32 v136, 0xbb9c, v145
	v_fma_f16 v24, -0.5, v24, v0
	v_fmac_f16_e32 v31, 0xb8b4, v147
	v_fmac_f16_e32 v0, -0.5, v131
	v_fmac_f16_e32 v115, 0x38b4, v21
	v_fma_f16 v12, -0.5, v12, v14
	v_fmac_f16_e32 v14, -0.5, v17
	v_add_f16_e32 v2, v2, v26
	v_add_f16_sdwa v4, v4, v26 dst_sel:DWORD dst_unused:UNUSED_PAD src0_sel:DWORD src1_sel:WORD_1
	v_add_f16_e32 v35, v35, v151
	v_fmac_f16_e32 v136, 0x38b4, v149
	v_fmac_f16_e32 v31, 0x34f2, v143
	v_fmamk_f16 v151, v123, 0xbb9c, v0
	v_fmac_f16_e32 v0, 0x3b9c, v123
	v_fmac_f16_e32 v115, 0x34f2, v11
	v_fmamk_f16 v11, v16, 0x3b9c, v14
	v_fmac_f16_e32 v14, 0xbb9c, v16
	v_sub_f16_e32 v150, v36, v26
	v_sub_f16_sdwa v26, v36, v26 dst_sel:DWORD dst_unused:UNUSED_PAD src0_sel:WORD_1 src1_sel:WORD_1
	v_fmac_f16_e32 v136, 0x34f2, v35
	v_mul_f16_e32 v152, 0xb4f2, v31
	v_add_f16_e32 v126, v126, v134
	v_fmac_f16_e32 v0, 0xb8b4, v130
	v_add_f16_e32 v134, v2, v36
	v_add_f16_sdwa v36, v4, v36 dst_sel:DWORD dst_unused:UNUSED_PAD src0_sel:DWORD src1_sel:WORD_1
	v_add_f16_e32 v4, v19, v15
	v_fmac_f16_e32 v14, 0x38b4, v23
	v_mul_f16_e32 v15, 0xb4f2, v39
	v_mul_f16_e32 v153, 0xb4f2, v136
	v_fmac_f16_e32 v152, 0x3b9c, v136
	v_fmac_f16_e32 v0, 0x34f2, v126
	;; [unrolled: 1-line block ×7, first 2 shown]
	v_add_f16_e32 v31, v0, v152
	v_sub_f16_e32 v2, v109, v112
	v_fmac_f16_e32 v116, 0xb8b4, v117
	v_fmac_f16_e32 v108, 0x34f2, v5
	;; [unrolled: 1-line block ×3, first 2 shown]
	v_sub_f16_e32 v4, v111, v28
	v_sub_f16_e32 v5, v20, v113
	v_add_f16_e32 v20, v14, v15
	v_sub_f16_e32 v28, v0, v152
	v_fmamk_f16 v0, v21, 0x3b9c, v29
	v_fmac_f16_e32 v29, 0xbb9c, v21
	v_fma_f16 v30, -0.5, v139, v30
	v_fmac_f16_e32 v116, 0x34f2, v22
	v_pack_b32_f16 v2, v2, v5
	v_pack_b32_f16 v5, v125, v20
	v_add_f16_e32 v9, v9, v119
	v_fmamk_f16 v20, v23, 0xbb9c, v12
	v_fmac_f16_e32 v12, 0x3b9c, v23
	v_fmac_f16_e32 v0, 0x38b4, v6
	;; [unrolled: 1-line block ×3, first 2 shown]
	v_mul_f16_e32 v17, 0x3b9c, v116
	v_mul_f16_e32 v19, 0xbb9c, v108
	v_fmac_f16_e32 v20, 0xb8b4, v16
	v_fmac_f16_e32 v12, 0x38b4, v16
	;; [unrolled: 1-line block ×4, first 2 shown]
	v_fmamk_f16 v9, v114, 0x3b9c, v30
	v_fmamk_f16 v16, v117, 0xbb9c, v38
	v_fmac_f16_e32 v38, 0x3b9c, v117
	v_add_f16_e32 v3, v3, v27
	v_fmac_f16_e32 v17, 0x34f2, v108
	v_fmac_f16_e32 v19, 0x34f2, v116
	v_add_f16_e32 v6, v18, v120
	v_fmac_f16_e32 v30, 0xbb9c, v114
	v_add_f16_e32 v18, v140, v150
	;; [unrolled: 2-line block ×4, first 2 shown]
	v_sub_f16_e32 v3, v118, v25
	v_add_f16_e32 v22, v115, v17
	v_add_f16_e32 v25, v11, v19
	v_fmac_f16_e32 v30, 0xb8b4, v42
	v_fmac_f16_e32 v16, 0xb8b4, v52
	;; [unrolled: 1-line block ×4, first 2 shown]
	v_pack_b32_f16 v3, v3, v4
	v_pack_b32_f16 v4, v22, v25
	v_fmac_f16_e32 v30, 0x34f2, v18
	v_fmac_f16_e32 v16, 0x34f2, v21
	v_mul_f16_e32 v18, 0x3a79, v9
	v_mul_f16_e32 v9, 0xb8b4, v9
	;; [unrolled: 1-line block ×3, first 2 shown]
	v_fmac_f16_e32 v20, 0x34f2, v6
	v_fmac_f16_e32 v12, 0x34f2, v6
	;; [unrolled: 1-line block ×5, first 2 shown]
	v_sub_f16_e32 v11, v11, v19
	v_fma_f16 v19, -0.5, v127, v121
	v_mul_f16_e32 v21, 0xba79, v30
	v_add_f16_e32 v25, v0, v18
	v_sub_f16_e32 v0, v0, v18
	v_sub_f16_e32 v18, v115, v17
	v_add_f16_e32 v30, v20, v9
	v_sub_f16_e32 v9, v20, v9
	v_fmamk_f16 v17, v130, 0x3b9c, v24
	v_fmac_f16_e32 v24, 0xbb9c, v130
	v_add_f16_e32 v20, v12, v22
	v_sub_f16_e32 v22, v12, v22
	v_fmamk_f16 v12, v132, 0xbb9c, v19
	v_fmac_f16_e32 v19, 0x3b9c, v132
	v_sub_f16_e32 v14, v14, v15
	v_add_f16_e32 v15, v124, v133
	v_fmac_f16_e32 v17, 0x38b4, v123
	v_fmac_f16_e32 v24, 0xb8b4, v123
	v_fmac_f16_e32 v121, -0.5, v8
	v_add_f16_e32 v8, v129, v135
	v_fmac_f16_e32 v12, 0xb8b4, v128
	v_fmac_f16_e32 v19, 0x38b4, v128
	v_sub_f16_e32 v131, v37, v27
	v_fmac_f16_e32 v17, 0x34f2, v15
	v_fmac_f16_e32 v24, 0x34f2, v15
	v_fmamk_f16 v15, v128, 0x3b9c, v121
	v_fmac_f16_e32 v121, 0xbb9c, v128
	v_fmac_f16_e32 v12, 0x34f2, v8
	;; [unrolled: 1-line block ×3, first 2 shown]
	v_add_f16_e32 v8, v10, v137
	v_fmamk_f16 v10, v147, 0x3b9c, v34
	v_add_f16_sdwa v51, v51, v27 dst_sel:DWORD dst_unused:UNUSED_PAD src0_sel:DWORD src1_sel:WORD_1
	v_sub_f16_sdwa v27, v37, v27 dst_sel:DWORD dst_unused:UNUSED_PAD src0_sel:WORD_1 src1_sel:WORD_1
	v_fmac_f16_e32 v15, 0xb8b4, v132
	v_fmac_f16_e32 v121, 0x38b4, v132
	v_add_f16_e32 v16, v142, v131
	v_fmac_f16_e32 v10, 0x38b4, v141
	v_fmamk_f16 v32, v149, 0xbb9c, v144
	v_fmac_f16_e32 v144, 0x3b9c, v149
	v_fmac_f16_e32 v148, 0xb8b4, v149
	;; [unrolled: 1-line block ×6, first 2 shown]
	v_add_f16_e32 v8, v146, v27
	v_fmac_f16_e32 v32, 0xb8b4, v145
	v_fmac_f16_e32 v10, 0x34f2, v16
	;; [unrolled: 1-line block ×7, first 2 shown]
	v_mul_f16_e32 v27, 0x3a79, v10
	v_fmac_f16_e32 v33, 0x34f2, v143
	v_mul_f16_e32 v10, 0xb8b4, v10
	v_fmac_f16_e32 v144, 0x34f2, v8
	;; [unrolled: 2-line block ×3, first 2 shown]
	v_fmac_f16_e32 v34, 0x34f2, v16
	v_fmac_f16_e32 v10, 0x3a79, v32
	v_add_co_u32 v16, null, 0x60, v94
	v_fmac_f16_e32 v8, 0x34f2, v33
	v_fmac_f16_e32 v21, 0x38b4, v38
	v_mul_f16_e32 v35, 0xba79, v34
	v_add_f16_sdwa v37, v51, v37 dst_sel:DWORD dst_unused:UNUSED_PAD src0_sel:DWORD src1_sel:WORD_1
	v_add_f16_e32 v6, v122, v134
	v_add_f16_e32 v39, v151, v8
	v_sub_f16_e32 v41, v151, v8
	v_add_f16_e32 v8, v12, v10
	v_sub_f16_e32 v10, v12, v10
	v_mul_u32_u24_e32 v12, 10, v16
	v_add_f16_e32 v26, v29, v21
	v_sub_f16_e32 v21, v29, v21
	v_add_f16_e32 v29, v13, v36
	v_fmac_f16_e32 v35, 0x38b4, v144
	v_lshlrev_b32_e32 v111, 2, v12
	v_mul_u32_u24_e32 v12, 0xcccd, v74
	v_sub_f16_e32 v13, v13, v36
	v_fmac_f16_e32 v27, 0x38b4, v32
	v_mul_f16_e32 v36, 0xbb9c, v33
	v_sub_f16_e32 v23, v122, v134
	v_lshrrev_b32_e32 v12, 19, v12
	v_add_f16_e32 v42, v24, v35
	v_sub_f16_e32 v24, v24, v35
	v_add_f16_e32 v35, v7, v37
	v_sub_f16_e32 v37, v7, v37
	v_pack_b32_f16 v7, v25, v30
	v_pack_b32_f16 v6, v6, v29
	ds_write_b64 v110, v[2:3] offset:32
	v_pack_b32_f16 v3, v18, v11
	v_mul_lo_u16 v11, v12, 10
	v_fmac_f16_e32 v36, 0x34f2, v148
	v_add_f16_e32 v38, v17, v27
	v_sub_f16_e32 v27, v17, v27
	v_add_co_u32 v17, null, 0xc0, v94
	ds_write2_b64 v111, v[6:7], v[4:5] offset1:1
	v_pack_b32_f16 v5, v23, v13
	v_sub_nc_u16 v13, v74, v11
	v_mul_f16_e32 v32, 0xba79, v144
	v_add_f16_e32 v33, v138, v136
	v_add_f16_e32 v25, v15, v36
	v_add_f16_e32 v29, v121, v153
	v_pack_b32_f16 v2, v0, v9
	v_mul_u32_u24_e32 v0, 10, v17
	v_pack_b32_f16 v4, v26, v20
	v_mul_lo_u16 v18, v13, 20
	v_pack_b32_f16 v7, v21, v22
	v_pack_b32_f16 v6, v1, v14
	v_fmac_f16_e32 v32, 0xb8b4, v34
	v_lshlrev_b32_e32 v112, 2, v0
	v_pack_b32_f16 v1, v38, v8
	v_pack_b32_f16 v9, v31, v29
	;; [unrolled: 1-line block ×4, first 2 shown]
	ds_write2_b64 v111, v[4:5], v[2:3] offset0:2 offset1:3
	ds_write_b64 v111, v[6:7] offset:32
	ds_write2_b64 v112, v[0:1], v[8:9] offset1:1
	v_and_b32_e32 v2, 0xffff, v18
	v_sub_f16_e32 v34, v138, v136
	v_sub_f16_e32 v15, v15, v36
	;; [unrolled: 1-line block ×3, first 2 shown]
	v_add_f16_e32 v36, v19, v32
	v_sub_f16_e32 v19, v19, v32
	v_add_co_u32 v4, s0, s2, v2
	v_pack_b32_f16 v10, v27, v10
	v_pack_b32_f16 v11, v41, v15
	;; [unrolled: 1-line block ×6, first 2 shown]
	v_add_co_ci_u32_e64 v5, null, s3, 0, s0
	v_and_b32_e32 v6, 0xff, v49
	ds_write2_b64 v112, v[14:15], v[10:11] offset0:2 offset1:3
	ds_write_b64 v112, v[0:1] offset:32
	s_waitcnt lgkmcnt(0)
	s_barrier
	buffer_gl0_inv
	s_clause 0x1
	global_load_dwordx4 v[0:3], v[4:5], off
	global_load_dword v108, v[4:5], off offset:16
	v_mul_lo_u16 v6, 0xcd, v6
	v_and_b32_e32 v18, 0xff, v16
	v_add_co_u32 v51, s0, 0x120, v94
	v_add_co_ci_u32_e64 v127, null, 0, 0, s0
	v_lshrrev_b16 v14, 11, v6
	v_mul_lo_u16 v6, 0xcd, v18
	v_mad_u16 v12, v12, 60, v13
	v_mul_lo_u16 v4, v14, 10
	v_lshrrev_b16 v19, 11, v6
	v_mul_u32_u24_sdwa v14, v14, v164 dst_sel:DWORD dst_unused:UNUSED_PAD src0_sel:WORD_0 src1_sel:DWORD
	v_lshlrev_b32_sdwa v189, v50, v12 dst_sel:DWORD dst_unused:UNUSED_PAD src0_sel:DWORD src1_sel:WORD_0
	v_sub_nc_u16 v4, v49, v4
	v_mul_lo_u16 v6, v19, 10
	v_mul_u32_u24_sdwa v19, v19, v164 dst_sel:DWORD dst_unused:UNUSED_PAD src0_sel:WORD_0 src1_sel:DWORD
	v_and_b32_e32 v21, 0xff, v4
	v_sub_nc_u16 v6, v16, v6
	v_mad_u64_u32 v[4:5], null, v21, 20, s[2:3]
	v_and_b32_e32 v20, 0xff, v6
	v_add_lshl_u32 v191, v14, v21, 2
	v_mad_u64_u32 v[22:23], null, v20, 20, s[2:3]
	s_clause 0x3
	global_load_dwordx4 v[8:11], v[4:5], off
	global_load_dword v113, v[4:5], off offset:16
	global_load_dwordx4 v[4:7], v[22:23], off
	global_load_dword v109, v[22:23], off offset:16
	v_mov_b32_e32 v22, 0xcccd
	v_add_lshl_u32 v190, v19, v20, 2
	v_mul_u32_u24_sdwa v15, v17, v22 dst_sel:DWORD dst_unused:UNUSED_PAD src0_sel:WORD_0 src1_sel:DWORD
	v_mul_u32_u24_sdwa v22, v51, v22 dst_sel:DWORD dst_unused:UNUSED_PAD src0_sel:WORD_0 src1_sel:DWORD
	v_lshrrev_b32_e32 v15, 19, v15
	v_lshrrev_b32_e32 v120, 19, v22
	v_mul_lo_u16 v23, v15, 10
	v_sub_nc_u16 v52, v17, v23
	v_mul_lo_u16 v23, v120, 10
	v_mul_lo_u16 v22, v52, 20
	v_sub_nc_u16 v121, v51, v23
	v_mad_u16 v15, v15, 60, v52
	v_and_b32_e32 v22, 0xffff, v22
	v_mul_lo_u16 v24, v121, 20
	v_lshlrev_b32_sdwa v192, v50, v15 dst_sel:DWORD dst_unused:UNUSED_PAD src0_sel:DWORD src1_sel:WORD_0
	v_add_co_u32 v22, s0, s2, v22
	v_add_co_ci_u32_e64 v23, null, s3, 0, s0
	v_and_b32_e32 v24, 0xffff, v24
	s_clause 0x1
	global_load_dwordx4 v[36:39], v[22:23], off
	global_load_dword v182, v[22:23], off offset:16
	v_add_co_u32 v22, s0, s2, v24
	v_add_co_ci_u32_e64 v23, null, s3, 0, s0
	s_clause 0x1
	global_load_dwordx4 v[32:35], v[22:23], off
	global_load_dword v173, v[22:23], off offset:16
	ds_read2_b32 v[22:23], v104 offset1:96
	ds_read2_b32 v[24:25], v82 offset0:128 offset1:224
	ds_read2_b32 v[26:27], v99 offset0:64 offset1:160
	;; [unrolled: 1-line block ×3, first 2 shown]
	ds_read2_b32 v[30:31], v88 offset1:96
	ds_read2_b32 v[41:42], v68 offset0:128 offset1:224
	s_waitcnt lgkmcnt(5)
	v_lshrrev_b32_e32 v114, 16, v23
	s_waitcnt lgkmcnt(4)
	v_lshrrev_b32_e32 v122, 16, v24
	s_waitcnt lgkmcnt(3)
	v_lshrrev_b32_e32 v115, 16, v26
	s_waitcnt lgkmcnt(2)
	v_lshrrev_b32_e32 v116, 16, v29
	s_waitcnt lgkmcnt(1)
	v_lshrrev_b32_e32 v117, 16, v30
	s_waitcnt lgkmcnt(0)
	v_lshrrev_b32_e32 v119, 16, v42
	s_waitcnt vmcnt(9)
	v_mul_f16_sdwa v118, v114, v0 dst_sel:DWORD dst_unused:UNUSED_PAD src0_sel:DWORD src1_sel:WORD_1
	v_mul_f16_sdwa v123, v23, v0 dst_sel:DWORD dst_unused:UNUSED_PAD src0_sel:DWORD src1_sel:WORD_1
	;; [unrolled: 1-line block ×4, first 2 shown]
	s_waitcnt vmcnt(8)
	v_mul_f16_sdwa v128, v42, v108 dst_sel:DWORD dst_unused:UNUSED_PAD src0_sel:DWORD src1_sel:WORD_1
	v_fma_f16 v126, v23, v0, -v118
	v_mul_f16_sdwa v23, v116, v2 dst_sel:DWORD dst_unused:UNUSED_PAD src0_sel:DWORD src1_sel:WORD_1
	v_fma_f16 v124, v26, v1, -v124
	v_mul_f16_sdwa v26, v119, v108 dst_sel:DWORD dst_unused:UNUSED_PAD src0_sel:DWORD src1_sel:WORD_1
	v_fmac_f16_e32 v123, v114, v0
	v_mul_f16_sdwa v114, v117, v3 dst_sel:DWORD dst_unused:UNUSED_PAD src0_sel:DWORD src1_sel:WORD_1
	v_fma_f16 v23, v29, v2, -v23
	v_mul_f16_sdwa v29, v29, v2 dst_sel:DWORD dst_unused:UNUSED_PAD src0_sel:DWORD src1_sel:WORD_1
	v_fma_f16 v42, v42, v108, -v26
	v_fmac_f16_e32 v128, v119, v108
	v_mul_f16_sdwa v129, v30, v3 dst_sel:DWORD dst_unused:UNUSED_PAD src0_sel:DWORD src1_sel:WORD_1
	v_fma_f16 v130, v30, v3, -v114
	v_fmac_f16_e32 v29, v116, v2
	v_add_f16_e32 v26, v23, v42
	v_fmac_f16_e32 v125, v115, v1
	v_fmac_f16_e32 v129, v117, v3
	v_add_f16_e32 v132, v126, v23
	v_add_f16_e32 v30, v29, v128
	v_fmac_f16_e32 v126, -0.5, v26
	v_sub_f16_e32 v26, v29, v128
	v_add_f16_e32 v114, v124, v130
	v_add_f16_e32 v133, v123, v29
	v_fmac_f16_e32 v123, -0.5, v30
	v_sub_f16_e32 v23, v23, v42
	v_add_f16_e32 v131, v24, v124
	v_fmamk_f16 v134, v26, 0x3aee, v126
	v_fmac_f16_e32 v126, 0xbaee, v26
	v_fmac_f16_e32 v24, -0.5, v114
	v_sub_f16_e32 v26, v125, v129
	v_fmamk_f16 v135, v23, 0xbaee, v123
	v_fmac_f16_e32 v123, 0x3aee, v23
	v_lshrrev_b32_e32 v23, 16, v25
	v_mul_f16_e32 v116, -0.5, v126
	v_fmamk_f16 v136, v26, 0x3aee, v24
	v_fmac_f16_e32 v24, 0xbaee, v26
	ds_read2_b32 v[114:115], v91 offset0:128 offset1:224
	s_waitcnt vmcnt(7)
	v_mul_f16_sdwa v26, v23, v8 dst_sel:DWORD dst_unused:UNUSED_PAD src0_sel:DWORD src1_sel:WORD_1
	v_lshrrev_b32_e32 v118, 16, v27
	v_lshrrev_b32_e32 v119, 16, v31
	ds_read2_b32 v[29:30], v79 offset0:64 offset1:160
	v_fmac_f16_e32 v116, 0x3aee, v123
	v_fma_f16 v137, v25, v8, -v26
	v_mul_f16_sdwa v138, v25, v8 dst_sel:DWORD dst_unused:UNUSED_PAD src0_sel:DWORD src1_sel:WORD_1
	v_mul_f16_sdwa v25, v118, v10 dst_sel:DWORD dst_unused:UNUSED_PAD src0_sel:DWORD src1_sel:WORD_1
	s_waitcnt vmcnt(6)
	v_mul_f16_sdwa v26, v119, v113 dst_sel:DWORD dst_unused:UNUSED_PAD src0_sel:DWORD src1_sel:WORD_1
	v_add_f16_e32 v139, v24, v116
	v_sub_f16_e32 v140, v24, v116
	v_fmac_f16_e32 v138, v23, v8
	v_fma_f16 v141, v27, v10, -v25
	v_fma_f16 v142, v31, v113, -v26
	ds_read2_b32 v[23:24], v76 offset1:96
	ds_read2_b32 v[25:26], v89 offset0:64 offset1:160
	ds_read2_b32 v[116:117], v103 offset0:64 offset1:160
	v_mul_f16_sdwa v27, v27, v10 dst_sel:DWORD dst_unused:UNUSED_PAD src0_sel:DWORD src1_sel:WORD_1
	v_mul_f16_sdwa v31, v31, v113 dst_sel:DWORD dst_unused:UNUSED_PAD src0_sel:DWORD src1_sel:WORD_1
	v_mul_f16_e32 v13, -0.5, v123
	s_waitcnt lgkmcnt(4)
	v_lshrrev_b32_e32 v147, 16, v115
	s_waitcnt vmcnt(5)
	v_mul_f16_sdwa v152, v115, v7 dst_sel:DWORD dst_unused:UNUSED_PAD src0_sel:DWORD src1_sel:WORD_1
	v_lshrrev_b32_e32 v146, 16, v114
	v_fmac_f16_e32 v27, v118, v10
	s_waitcnt lgkmcnt(3)
	v_lshrrev_b32_e32 v145, 16, v30
	v_mul_f16_sdwa v150, v147, v7 dst_sel:DWORD dst_unused:UNUSED_PAD src0_sel:DWORD src1_sel:WORD_1
	v_mul_f16_sdwa v151, v30, v5 dst_sel:DWORD dst_unused:UNUSED_PAD src0_sel:DWORD src1_sel:WORD_1
	v_lshrrev_b32_e32 v143, 16, v29
	v_mul_f16_sdwa v144, v29, v9 dst_sel:DWORD dst_unused:UNUSED_PAD src0_sel:DWORD src1_sel:WORD_1
	v_mul_f16_sdwa v149, v145, v5 dst_sel:DWORD dst_unused:UNUSED_PAD src0_sel:DWORD src1_sel:WORD_1
	v_fma_f16 v150, v115, v7, -v150
	v_fmac_f16_e32 v151, v145, v5
	v_mul_f16_sdwa v148, v143, v9 dst_sel:DWORD dst_unused:UNUSED_PAD src0_sel:DWORD src1_sel:WORD_1
	v_fmac_f16_e32 v144, v143, v9
	s_waitcnt lgkmcnt(2)
	v_lshrrev_b32_e32 v115, 16, v23
	s_waitcnt lgkmcnt(1)
	v_lshrrev_b32_e32 v145, 16, v25
	;; [unrolled: 2-line block ×3, first 2 shown]
	v_fma_f16 v148, v29, v9, -v148
	v_fma_f16 v149, v30, v5, -v149
	v_mul_f16_sdwa v154, v115, v6 dst_sel:DWORD dst_unused:UNUSED_PAD src0_sel:DWORD src1_sel:WORD_1
	s_waitcnt vmcnt(4)
	v_mul_f16_sdwa v155, v145, v109 dst_sel:DWORD dst_unused:UNUSED_PAD src0_sel:DWORD src1_sel:WORD_1
	ds_read2_b32 v[29:30], v97 offset1:96
	v_mul_f16_sdwa v156, v23, v6 dst_sel:DWORD dst_unused:UNUSED_PAD src0_sel:DWORD src1_sel:WORD_1
	v_mul_f16_sdwa v157, v25, v109 dst_sel:DWORD dst_unused:UNUSED_PAD src0_sel:DWORD src1_sel:WORD_1
	;; [unrolled: 1-line block ×3, first 2 shown]
	v_fma_f16 v23, v23, v6, -v154
	v_fma_f16 v25, v25, v109, -v155
	v_fmac_f16_e32 v156, v115, v6
	v_mul_f16_sdwa v154, v116, v4 dst_sel:DWORD dst_unused:UNUSED_PAD src0_sel:DWORD src1_sel:WORD_1
	v_fma_f16 v116, v116, v4, -v158
	v_fmac_f16_e32 v157, v145, v109
	v_add_f16_e32 v115, v23, v25
	v_mul_f16_sdwa v143, v146, v11 dst_sel:DWORD dst_unused:UNUSED_PAD src0_sel:DWORD src1_sel:WORD_1
	v_fmac_f16_e32 v154, v153, v4
	v_add_f16_e32 v153, v116, v23
	v_add_f16_e32 v155, v156, v157
	v_fmac_f16_e32 v116, -0.5, v115
	v_sub_f16_e32 v115, v156, v157
	v_fmac_f16_e32 v152, v147, v7
	v_add_f16_e32 v147, v149, v150
	v_add_f16_e32 v156, v154, v156
	v_fmac_f16_e32 v154, -0.5, v155
	v_sub_f16_e32 v23, v23, v25
	v_fmamk_f16 v155, v115, 0x3aee, v116
	v_fmac_f16_e32 v116, 0xbaee, v115
	v_fma_f16 v143, v114, v11, -v143
	s_waitcnt lgkmcnt(0)
	v_lshrrev_b32_e32 v145, 16, v30
	v_add_f16_e32 v158, v30, v149
	v_fmac_f16_e32 v30, -0.5, v147
	v_sub_f16_e32 v115, v151, v152
	v_fmamk_f16 v147, v23, 0xbaee, v154
	v_fmac_f16_e32 v154, 0x3aee, v23
	v_mul_f16_e32 v23, -0.5, v116
	v_mul_f16_sdwa v114, v114, v11 dst_sel:DWORD dst_unused:UNUSED_PAD src0_sel:DWORD src1_sel:WORD_1
	v_fmamk_f16 v159, v115, 0x3aee, v30
	v_add_f16_e32 v118, v148, v143
	v_fmac_f16_e32 v30, 0xbaee, v115
	v_fmac_f16_e32 v23, 0x3aee, v154
	;; [unrolled: 1-line block ×4, first 2 shown]
	v_fma_f16 v146, -0.5, v118, v29
	v_lshrrev_b32_e32 v160, 16, v29
	v_add_f16_e32 v161, v30, v23
	v_sub_f16_e32 v23, v30, v23
	v_add_f16_e32 v30, v27, v31
	v_add_f16_e32 v118, v141, v142
	;; [unrolled: 1-line block ×4, first 2 shown]
	v_sub_f16_e32 v27, v27, v31
	v_fmac_f16_e32 v138, -0.5, v30
	v_add_f16_e32 v30, v137, v141
	v_sub_f16_e32 v141, v141, v142
	v_fmac_f16_e32 v137, -0.5, v118
	v_add_f16_e32 v29, v29, v148
	v_add_f16_e32 v118, v144, v114
	v_sub_f16_e32 v144, v144, v114
	v_add_f16_e32 v162, v115, v114
	v_fmamk_f16 v114, v141, 0xbaee, v138
	v_fmamk_f16 v115, v27, 0x3aee, v137
	v_fmac_f16_e32 v160, -0.5, v118
	v_add_f16_e32 v163, v29, v143
	v_sub_f16_e32 v118, v148, v143
	v_mul_f16_e32 v143, 0x3aee, v114
	v_mul_f16_e32 v148, 0xbaee, v115
	v_fmac_f16_e32 v137, 0xbaee, v27
	v_fmac_f16_e32 v138, 0x3aee, v141
	v_add_f16_e32 v142, v30, v142
	v_add_f16_e32 v31, v119, v31
	v_fmac_f16_e32 v143, 0.5, v115
	v_fmac_f16_e32 v148, 0.5, v114
	v_fmamk_f16 v165, v144, 0x3aee, v146
	v_fmamk_f16 v166, v118, 0xbaee, v160
	v_mul_f16_e32 v27, -0.5, v137
	v_mul_f16_e32 v141, -0.5, v138
	v_add_f16_e32 v29, v163, v142
	v_add_f16_e32 v30, v162, v31
	;; [unrolled: 1-line block ×4, first 2 shown]
	v_fmac_f16_e32 v146, 0xbaee, v144
	v_fmac_f16_e32 v160, 0x3aee, v118
	;; [unrolled: 1-line block ×4, first 2 shown]
	v_pack_b32_f16 v14, v29, v30
	v_pack_b32_f16 v21, v114, v115
	v_sub_f16_e32 v137, v163, v142
	v_add_f16_e32 v138, v146, v27
	v_add_f16_e32 v142, v160, v141
	ds_read2_b32 v[29:30], v105 offset0:64 offset1:160
	ds_read2_b32 v[114:115], v98 offset0:128 offset1:224
	;; [unrolled: 1-line block ×3, first 2 shown]
	s_waitcnt vmcnt(0) lgkmcnt(0)
	v_sub_f16_e32 v31, v162, v31
	s_barrier
	buffer_gl0_inv
	ds_write2_b32 v191, v14, v21 offset1:10
	v_pack_b32_f16 v14, v138, v142
	v_add_f16_e32 v142, v151, v152
	v_pack_b32_f16 v21, v137, v31
	v_sub_f16_e32 v31, v165, v143
	v_sub_f16_e32 v137, v166, v148
	v_add_f16_e32 v138, v145, v151
	v_fmac_f16_e32 v145, -0.5, v142
	v_mul_f16_e32 v142, 0x3aee, v147
	v_mul_f16_e32 v143, 0xbaee, v155
	v_sub_f16_e32 v144, v149, v150
	v_sub_f16_e32 v27, v146, v27
	;; [unrolled: 1-line block ×3, first 2 shown]
	v_pack_b32_f16 v31, v31, v137
	v_add_f16_e32 v137, v138, v152
	v_add_f16_e32 v138, v158, v150
	;; [unrolled: 1-line block ×4, first 2 shown]
	v_fmac_f16_e32 v142, 0.5, v155
	v_fmac_f16_e32 v143, 0.5, v147
	v_fmamk_f16 v147, v144, 0xbaee, v145
	v_pack_b32_f16 v27, v27, v141
	v_mul_f16_e32 v141, -0.5, v154
	v_add_f16_e32 v148, v138, v25
	v_add_f16_e32 v149, v137, v146
	;; [unrolled: 1-line block ×4, first 2 shown]
	v_fmac_f16_e32 v145, 0x3aee, v144
	v_fmac_f16_e32 v141, 0xbaee, v116
	v_pack_b32_f16 v19, v148, v149
	v_lshrrev_b32_e32 v144, 16, v41
	v_pack_b32_f16 v20, v150, v151
	ds_write2_b32 v191, v14, v21 offset0:20 offset1:30
	ds_write2_b32 v191, v31, v27 offset0:40 offset1:50
	ds_write2_b32 v190, v19, v20 offset1:10
	v_sub_f16_e32 v14, v138, v25
	v_add_f16_e32 v19, v145, v141
	v_sub_f16_e32 v20, v137, v146
	v_sub_f16_e32 v21, v159, v142
	;; [unrolled: 1-line block ×4, first 2 shown]
	v_lshrrev_b32_e32 v31, 16, v117
	v_pack_b32_f16 v19, v161, v19
	v_pack_b32_f16 v14, v14, v20
	;; [unrolled: 1-line block ×4, first 2 shown]
	v_lshrrev_b32_e32 v23, 16, v24
	v_mul_f16_sdwa v25, v31, v36 dst_sel:DWORD dst_unused:UNUSED_PAD src0_sel:DWORD src1_sel:WORD_1
	ds_write2_b32 v190, v19, v14 offset0:20 offset1:30
	ds_write2_b32 v190, v20, v21 offset0:40 offset1:50
	v_lshrrev_b32_e32 v141, 16, v28
	v_mul_f16_sdwa v14, v23, v38 dst_sel:DWORD dst_unused:UNUSED_PAD src0_sel:DWORD src1_sel:WORD_1
	v_fma_f16 v19, v117, v36, -v25
	v_lshrrev_b32_e32 v25, 16, v22
	v_lshrrev_b32_e32 v142, 16, v119
	v_mul_f16_sdwa v143, v141, v34 dst_sel:DWORD dst_unused:UNUSED_PAD src0_sel:DWORD src1_sel:WORD_1
	v_fma_f16 v14, v24, v38, -v14
	v_mul_f16_sdwa v24, v24, v38 dst_sel:DWORD dst_unused:UNUSED_PAD src0_sel:DWORD src1_sel:WORD_1
	v_mul_f16_sdwa v116, v25, v32 dst_sel:DWORD dst_unused:UNUSED_PAD src0_sel:DWORD src1_sel:WORD_1
	;; [unrolled: 1-line block ×4, first 2 shown]
	v_lshrrev_b32_e32 v117, 16, v114
	v_lshrrev_b32_e32 v137, 16, v115
	v_fmac_f16_e32 v24, v23, v38
	v_fma_f16 v23, v22, v32, -v116
	v_mul_f16_sdwa v22, v22, v32 dst_sel:DWORD dst_unused:UNUSED_PAD src0_sel:DWORD src1_sel:WORD_1
	v_mul_f16_sdwa v146, v142, v35 dst_sel:DWORD dst_unused:UNUSED_PAD src0_sel:DWORD src1_sel:WORD_1
	v_fma_f16 v143, v28, v34, -v143
	v_mul_f16_sdwa v28, v28, v34 dst_sel:DWORD dst_unused:UNUSED_PAD src0_sel:DWORD src1_sel:WORD_1
	v_fma_f16 v147, v41, v173, -v147
	v_mul_f16_sdwa v41, v41, v173 dst_sel:DWORD dst_unused:UNUSED_PAD src0_sel:DWORD src1_sel:WORD_1
	v_fmac_f16_e32 v21, v31, v36
	v_mul_f16_sdwa v31, v117, v37 dst_sel:DWORD dst_unused:UNUSED_PAD src0_sel:DWORD src1_sel:WORD_1
	v_mul_f16_sdwa v116, v137, v33 dst_sel:DWORD dst_unused:UNUSED_PAD src0_sel:DWORD src1_sel:WORD_1
	v_fma_f16 v146, v119, v35, -v146
	v_mul_f16_sdwa v119, v119, v35 dst_sel:DWORD dst_unused:UNUSED_PAD src0_sel:DWORD src1_sel:WORD_1
	v_fmac_f16_e32 v22, v25, v32
	v_fmac_f16_e32 v28, v141, v34
	v_fmac_f16_e32 v41, v144, v173
	v_add_f16_e32 v25, v143, v147
	v_lshrrev_b32_e32 v27, 16, v26
	v_mul_f16_sdwa v138, v114, v37 dst_sel:DWORD dst_unused:UNUSED_PAD src0_sel:DWORD src1_sel:WORD_1
	v_fma_f16 v31, v114, v37, -v31
	v_fma_f16 v114, v115, v33, -v116
	v_mul_f16_sdwa v115, v115, v33 dst_sel:DWORD dst_unused:UNUSED_PAD src0_sel:DWORD src1_sel:WORD_1
	v_fmac_f16_e32 v119, v142, v35
	v_add_f16_e32 v142, v23, v143
	v_add_f16_e32 v144, v28, v41
	v_fmac_f16_e32 v23, -0.5, v25
	v_sub_f16_e32 v25, v28, v41
	v_mul_f16_sdwa v20, v27, v182 dst_sel:DWORD dst_unused:UNUSED_PAD src0_sel:DWORD src1_sel:WORD_1
	v_lshrrev_b32_e32 v116, 16, v118
	v_fmac_f16_e32 v115, v137, v33
	v_add_f16_e32 v137, v114, v146
	v_add_f16_e32 v28, v22, v28
	v_fmac_f16_e32 v22, -0.5, v144
	v_sub_f16_e32 v143, v143, v147
	v_fmamk_f16 v144, v25, 0x3aee, v23
	v_fmac_f16_e32 v23, 0xbaee, v25
	v_fma_f16 v20, v26, v182, -v20
	v_mul_f16_sdwa v26, v26, v182 dst_sel:DWORD dst_unused:UNUSED_PAD src0_sel:DWORD src1_sel:WORD_1
	v_mul_f16_sdwa v145, v116, v39 dst_sel:DWORD dst_unused:UNUSED_PAD src0_sel:DWORD src1_sel:WORD_1
	v_lshrrev_b32_e32 v141, 16, v30
	v_add_f16_e32 v148, v30, v114
	v_fmac_f16_e32 v30, -0.5, v137
	v_sub_f16_e32 v25, v115, v119
	v_fmamk_f16 v137, v143, 0xbaee, v22
	v_fmac_f16_e32 v22, 0x3aee, v143
	v_mul_f16_e32 v143, -0.5, v23
	v_fma_f16 v145, v118, v39, -v145
	v_mul_f16_sdwa v118, v118, v39 dst_sel:DWORD dst_unused:UNUSED_PAD src0_sel:DWORD src1_sel:WORD_1
	v_fmamk_f16 v149, v25, 0x3aee, v30
	v_fmac_f16_e32 v30, 0xbaee, v25
	v_fmac_f16_e32 v143, 0x3aee, v22
	;; [unrolled: 1-line block ×3, first 2 shown]
	v_add_f16_e32 v25, v31, v145
	v_fmac_f16_e32 v138, v117, v37
	v_fmac_f16_e32 v118, v116, v39
	v_add_f16_e32 v27, v30, v143
	v_sub_f16_e32 v30, v30, v143
	v_add_f16_e32 v116, v24, v26
	v_lshrrev_b32_e32 v117, 16, v29
	v_add_f16_e32 v143, v14, v20
	v_fma_f16 v25, -0.5, v25, v29
	v_add_f16_e32 v29, v29, v31
	v_add_f16_e32 v150, v21, v24
	v_fmac_f16_e32 v21, -0.5, v116
	v_add_f16_e32 v116, v19, v14
	v_fmac_f16_e32 v19, -0.5, v143
	v_add_f16_e32 v143, v117, v138
	v_sub_f16_e32 v14, v14, v20
	v_sub_f16_e32 v24, v24, v26
	v_add_f16_e32 v151, v138, v118
	v_sub_f16_e32 v138, v138, v118
	v_add_f16_e32 v118, v143, v118
	v_add_f16_e32 v29, v29, v145
	;; [unrolled: 1-line block ×4, first 2 shown]
	v_fmamk_f16 v152, v14, 0xbaee, v21
	v_fmamk_f16 v153, v24, 0x3aee, v19
	v_fmac_f16_e32 v19, 0xbaee, v24
	v_add_f16_e32 v52, v29, v20
	v_add_f16_e32 v116, v118, v26
	v_fmac_f16_e32 v21, 0x3aee, v14
	v_fmac_f16_e32 v117, -0.5, v151
	v_mul_f16_e32 v143, 0x3aee, v152
	v_mul_f16_e32 v151, 0xbaee, v153
	v_sub_f16_e32 v31, v31, v145
	v_pack_b32_f16 v24, v52, v116
	v_mul_f16_e32 v116, -0.5, v19
	v_mul_f16_e32 v150, -0.5, v21
	v_fmac_f16_e32 v143, 0.5, v153
	v_fmac_f16_e32 v151, 0.5, v152
	v_fmamk_f16 v145, v138, 0x3aee, v25
	v_fmamk_f16 v14, v31, 0xbaee, v117
	v_fmac_f16_e32 v25, 0xbaee, v138
	v_fmac_f16_e32 v117, 0x3aee, v31
	;; [unrolled: 1-line block ×4, first 2 shown]
	v_add_f16_e32 v52, v145, v143
	v_add_f16_e32 v152, v14, v151
	v_sub_f16_e32 v20, v29, v20
	v_sub_f16_e32 v21, v118, v26
	v_add_f16_e32 v26, v25, v116
	v_add_f16_e32 v29, v117, v150
	v_pack_b32_f16 v19, v52, v152
	v_sub_f16_e32 v31, v145, v143
	v_sub_f16_e32 v25, v25, v116
	;; [unrolled: 1-line block ×4, first 2 shown]
	v_pack_b32_f16 v15, v26, v29
	v_add_f16_e32 v26, v115, v119
	v_pack_b32_f16 v20, v20, v21
	v_pack_b32_f16 v14, v31, v14
	;; [unrolled: 1-line block ×3, first 2 shown]
	v_add_f16_e32 v25, v141, v115
	ds_write2_b32 v192, v24, v19 offset1:10
	ds_write2_b32 v192, v15, v20 offset0:20 offset1:30
	ds_write2_b32 v192, v14, v21 offset0:40 offset1:50
	v_fmac_f16_e32 v141, -0.5, v26
	v_mul_f16_e32 v19, 0x3aee, v137
	v_mul_f16_e32 v20, 0xbaee, v144
	v_sub_f16_e32 v21, v114, v146
	v_mul_f16_e32 v22, -0.5, v22
	v_add_f16_e32 v14, v25, v119
	v_add_f16_e32 v15, v148, v146
	;; [unrolled: 1-line block ×4, first 2 shown]
	v_fmac_f16_e32 v19, 0.5, v144
	v_fmac_f16_e32 v20, 0.5, v137
	v_fmamk_f16 v26, v21, 0xbaee, v141
	v_fmac_f16_e32 v141, 0x3aee, v21
	v_fmac_f16_e32 v22, 0xbaee, v23
	v_add_f16_e32 v28, v15, v24
	v_add_f16_e32 v29, v14, v25
	;; [unrolled: 1-line block ×4, first 2 shown]
	v_mad_u16 v52, v120, 60, v121
	v_sub_f16_e32 v15, v15, v24
	v_sub_f16_e32 v14, v14, v25
	v_add_f16_e32 v24, v141, v22
	v_sub_f16_e32 v19, v149, v19
	v_sub_f16_e32 v20, v26, v20
	;; [unrolled: 1-line block ×3, first 2 shown]
	v_pack_b32_f16 v21, v28, v29
	v_pack_b32_f16 v23, v31, v41
	v_lshlrev_b32_sdwa v188, v50, v52 dst_sel:DWORD dst_unused:UNUSED_PAD src0_sel:DWORD src1_sel:WORD_0
	v_pack_b32_f16 v14, v15, v14
	v_pack_b32_f16 v15, v19, v20
	;; [unrolled: 1-line block ×3, first 2 shown]
	v_add_f16_e32 v20, v122, v125
	v_add_f16_e32 v22, v125, v129
	v_pack_b32_f16 v24, v27, v24
	ds_write2_b32 v188, v21, v23 offset1:10
	ds_write2_b32 v188, v24, v14 offset0:20 offset1:30
	ds_write2_b32 v188, v15, v19 offset0:40 offset1:50
	v_add_f16_e32 v14, v20, v129
	v_fmac_f16_e32 v122, -0.5, v22
	v_add_f16_e32 v15, v131, v130
	v_add_f16_e32 v22, v132, v42
	;; [unrolled: 1-line block ×3, first 2 shown]
	v_mul_u32_u24_e32 v25, 0x8889, v74
	v_mul_f16_e32 v19, 0x3aee, v135
	v_sub_f16_e32 v21, v124, v130
	v_add_f16_e32 v26, v15, v22
	v_add_f16_e32 v27, v14, v23
	v_lshrrev_b32_e32 v52, 21, v25
	v_fmac_f16_e32 v19, 0.5, v134
	v_fmamk_f16 v24, v21, 0xbaee, v122
	v_fmac_f16_e32 v122, 0x3aee, v21
	v_pack_b32_f16 v25, v26, v27
	v_mul_lo_u16 v27, v52, 60
	v_fmac_f16_e32 v13, 0xbaee, v126
	v_mul_f16_e32 v20, 0xbaee, v134
	v_add_f16_e32 v28, v136, v19
	v_sub_f16_e32 v12, v15, v22
	v_sub_nc_u16 v116, v74, v27
	v_sub_f16_e32 v15, v136, v19
	v_add_f16_e32 v19, v122, v13
	v_sub_f16_e32 v14, v14, v23
	v_fmac_f16_e32 v20, 0.5, v135
	v_mul_lo_u16 v21, v116, 20
	v_sub_f16_e32 v13, v122, v13
	v_pack_b32_f16 v19, v139, v19
	v_pack_b32_f16 v12, v12, v14
	v_add_f16_e32 v29, v24, v20
	v_and_b32_e32 v14, 0xffff, v21
	v_sub_f16_e32 v20, v24, v20
	v_pack_b32_f16 v13, v140, v13
	ds_write2_b32 v189, v19, v12 offset0:20 offset1:30
	v_pack_b32_f16 v26, v28, v29
	v_add_co_u32 v19, s0, s2, v14
	v_pack_b32_f16 v15, v15, v20
	v_add_co_ci_u32_e64 v20, null, s3, 0, s0
	ds_write2_b32 v189, v25, v26 offset1:10
	v_mul_lo_u16 v21, 0x89, v18
	ds_write2_b32 v189, v15, v13 offset0:40 offset1:50
	s_waitcnt lgkmcnt(0)
	s_barrier
	buffer_gl0_inv
	s_clause 0x1
	global_load_dwordx4 v[12:15], v[19:20], off offset:200
	global_load_dword v114, v[19:20], off offset:216
	v_subrev_nc_u32_e32 v19, 60, v94
	v_lshrrev_b16 v136, 13, v21
	v_mad_u16 v52, 0x168, v52, v116
	v_cndmask_b32_e32 v132, v19, v94, vcc_lo
	v_mul_i32_i24_e32 v19, 20, v132
	v_mul_hi_i32_i24_e32 v20, 20, v132
	v_add_co_u32 v18, vcc_lo, s2, v19
	v_add_co_ci_u32_e32 v19, vcc_lo, s3, v20, vcc_lo
	v_mul_lo_u16 v20, v136, 60
	v_cmp_lt_u16_e32 vcc_lo, 59, v49
	s_clause 0x1
	global_load_dwordx4 v[28:31], v[18:19], off offset:200
	global_load_dword v172, v[18:19], off offset:216
	v_sub_nc_u16 v16, v16, v20
	v_and_b32_e32 v140, 0xff, v16
	v_mov_b32_e32 v16, 0x8889
	v_mad_u64_u32 v[18:19], null, v140, 20, s[2:3]
	s_clause 0x1
	global_load_dwordx4 v[24:27], v[18:19], off offset:200
	global_load_dword v120, v[18:19], off offset:216
	v_mul_u32_u24_sdwa v18, v17, v16 dst_sel:DWORD dst_unused:UNUSED_PAD src0_sel:WORD_0 src1_sel:DWORD
	v_mul_u32_u24_sdwa v16, v51, v16 dst_sel:DWORD dst_unused:UNUSED_PAD src0_sel:WORD_0 src1_sel:DWORD
	v_lshrrev_b32_e32 v141, 21, v18
	v_lshrrev_b32_e32 v143, 21, v16
	v_mul_lo_u16 v18, v141, 60
	v_sub_nc_u16 v142, v17, v18
	v_mul_lo_u16 v17, v143, 60
	v_mul_lo_u16 v16, v142, 20
	v_sub_nc_u16 v144, v51, v17
	v_and_b32_e32 v16, 0xffff, v16
	v_mul_lo_u16 v18, v144, 20
	v_mad_u16 v143, 0x168, v143, v144
	v_add_co_u32 v16, s0, s2, v16
	v_and_b32_e32 v18, 0xffff, v18
	v_add_co_ci_u32_e64 v17, null, s3, 0, s0
	v_add_co_u32 v41, s0, s2, v18
	s_clause 0x1
	global_load_dwordx4 v[20:23], v[16:17], off offset:200
	global_load_dword v117, v[16:17], off offset:216
	v_add_co_ci_u32_e64 v42, null, s3, 0, s0
	s_clause 0x1
	global_load_dwordx4 v[16:19], v[41:42], off offset:200
	global_load_dword v115, v[41:42], off offset:216
	ds_read2_b32 v[41:42], v99 offset0:64 offset1:160
	ds_read2_b32 v[118:119], v88 offset1:96
	ds_read2_b32 v[121:122], v93 offset0:64 offset1:160
	ds_read2_b32 v[124:125], v68 offset0:128 offset1:224
	ds_read2_b32 v[128:129], v104 offset1:96
	ds_read2_b32 v[130:131], v82 offset0:128 offset1:224
	s_waitcnt lgkmcnt(5)
	v_lshrrev_b32_e32 v123, 16, v41
	s_waitcnt lgkmcnt(4)
	v_lshrrev_b32_e32 v126, 16, v118
	;; [unrolled: 2-line block ×3, first 2 shown]
	s_waitcnt vmcnt(9)
	v_mul_f16_sdwa v145, v41, v13 dst_sel:DWORD dst_unused:UNUSED_PAD src0_sel:DWORD src1_sel:WORD_1
	v_mul_f16_sdwa v133, v123, v13 dst_sel:DWORD dst_unused:UNUSED_PAD src0_sel:DWORD src1_sel:WORD_1
	;; [unrolled: 1-line block ×4, first 2 shown]
	s_waitcnt vmcnt(8)
	v_mul_f16_sdwa v150, v125, v114 dst_sel:DWORD dst_unused:UNUSED_PAD src0_sel:DWORD src1_sel:WORD_1
	v_fmac_f16_e32 v145, v123, v13
	v_mul_f16_sdwa v123, v126, v15 dst_sel:DWORD dst_unused:UNUSED_PAD src0_sel:DWORD src1_sel:WORD_1
	v_fma_f16 v147, v41, v13, -v133
	v_lshrrev_b32_e32 v41, 16, v122
	v_lshrrev_b32_e32 v133, 16, v125
	v_fmac_f16_e32 v146, v126, v15
	v_fma_f16 v148, v118, v15, -v123
	v_lshrrev_b32_e32 v118, 16, v129
	v_mul_f16_sdwa v123, v41, v14 dst_sel:DWORD dst_unused:UNUSED_PAD src0_sel:DWORD src1_sel:WORD_1
	v_mul_f16_sdwa v126, v133, v114 dst_sel:DWORD dst_unused:UNUSED_PAD src0_sel:DWORD src1_sel:WORD_1
	v_fmac_f16_e32 v135, v41, v14
	v_fmac_f16_e32 v150, v133, v114
	v_mul_f16_sdwa v137, v118, v12 dst_sel:DWORD dst_unused:UNUSED_PAD src0_sel:DWORD src1_sel:WORD_1
	v_fma_f16 v122, v122, v14, -v123
	v_fma_f16 v149, v125, v114, -v126
	v_mul_f16_sdwa v153, v129, v12 dst_sel:DWORD dst_unused:UNUSED_PAD src0_sel:DWORD src1_sel:WORD_1
	v_add_f16_e32 v134, v147, v148
	v_fma_f16 v152, v129, v12, -v137
	v_add_f16_e32 v154, v130, v147
	v_add_f16_e32 v41, v122, v149
	v_fmac_f16_e32 v153, v118, v12
	v_add_f16_e32 v118, v135, v150
	v_add_f16_e32 v155, v152, v122
	v_fmac_f16_e32 v130, -0.5, v134
	v_fmac_f16_e32 v152, -0.5, v41
	v_sub_f16_e32 v41, v135, v150
	v_sub_f16_e32 v125, v145, v146
	v_add_f16_e32 v157, v153, v135
	v_fmac_f16_e32 v153, -0.5, v118
	v_sub_f16_e32 v118, v122, v149
	v_fmamk_f16 v156, v41, 0x3aee, v152
	v_fmac_f16_e32 v152, 0xbaee, v41
	v_lshrrev_b32_e32 v41, 16, v131
	v_fmamk_f16 v158, v125, 0x3aee, v130
	v_fmamk_f16 v159, v118, 0xbaee, v153
	v_fmac_f16_e32 v153, 0x3aee, v118
	v_mul_f16_e32 v118, -0.5, v152
	s_waitcnt vmcnt(7)
	v_mul_f16_sdwa v129, v41, v28 dst_sel:DWORD dst_unused:UNUSED_PAD src0_sel:DWORD src1_sel:WORD_1
	v_fmac_f16_e32 v130, 0xbaee, v125
	v_lshrrev_b32_e32 v133, 16, v42
	ds_read2_b32 v[125:126], v91 offset0:128 offset1:224
	ds_read2_b32 v[122:123], v79 offset0:64 offset1:160
	v_fmac_f16_e32 v118, 0x3aee, v153
	v_fma_f16 v137, v131, v28, -v129
	v_mul_f16_sdwa v138, v131, v28 dst_sel:DWORD dst_unused:UNUSED_PAD src0_sel:DWORD src1_sel:WORD_1
	v_mul_f16_sdwa v129, v133, v30 dst_sel:DWORD dst_unused:UNUSED_PAD src0_sel:DWORD src1_sel:WORD_1
	v_lshrrev_b32_e32 v131, 16, v119
	v_add_f16_e32 v160, v130, v118
	v_sub_f16_e32 v161, v130, v118
	v_fmac_f16_e32 v138, v41, v28
	v_fma_f16 v134, v42, v30, -v129
	s_waitcnt vmcnt(6)
	v_mul_f16_sdwa v118, v131, v172 dst_sel:DWORD dst_unused:UNUSED_PAD src0_sel:DWORD src1_sel:WORD_1
	v_mul_f16_sdwa v162, v42, v30 dst_sel:DWORD dst_unused:UNUSED_PAD src0_sel:DWORD src1_sel:WORD_1
	ds_read2_b32 v[41:42], v76 offset1:96
	ds_read2_b32 v[129:130], v89 offset0:64 offset1:160
	v_mul_f16_sdwa v165, v119, v172 dst_sel:DWORD dst_unused:UNUSED_PAD src0_sel:DWORD src1_sel:WORD_1
	v_fma_f16 v164, v119, v172, -v118
	ds_read2_b32 v[118:119], v103 offset0:64 offset1:160
	v_fmac_f16_e32 v162, v133, v30
	v_fmac_f16_e32 v165, v131, v172
	s_waitcnt lgkmcnt(4)
	v_lshrrev_b32_e32 v168, 16, v126
	s_waitcnt lgkmcnt(3)
	v_lshrrev_b32_e32 v163, 16, v123
	s_waitcnt vmcnt(5)
	v_mul_f16_sdwa v171, v123, v25 dst_sel:DWORD dst_unused:UNUSED_PAD src0_sel:DWORD src1_sel:WORD_1
	v_lshrrev_b32_e32 v135, 16, v122
	v_mul_f16_sdwa v174, v126, v27 dst_sel:DWORD dst_unused:UNUSED_PAD src0_sel:DWORD src1_sel:WORD_1
	v_mul_f16_sdwa v170, v168, v27 dst_sel:DWORD dst_unused:UNUSED_PAD src0_sel:DWORD src1_sel:WORD_1
	v_mul_f16_sdwa v169, v163, v25 dst_sel:DWORD dst_unused:UNUSED_PAD src0_sel:DWORD src1_sel:WORD_1
	v_fmac_f16_e32 v171, v163, v25
	v_mul_f16_sdwa v167, v135, v29 dst_sel:DWORD dst_unused:UNUSED_PAD src0_sel:DWORD src1_sel:WORD_1
	v_mul_f16_sdwa v139, v122, v29 dst_sel:DWORD dst_unused:UNUSED_PAD src0_sel:DWORD src1_sel:WORD_1
	v_fma_f16 v126, v126, v27, -v170
	v_fma_f16 v169, v123, v25, -v169
	s_waitcnt lgkmcnt(2)
	v_lshrrev_b32_e32 v163, 16, v41
	s_waitcnt lgkmcnt(1)
	v_lshrrev_b32_e32 v170, 16, v129
	v_fma_f16 v167, v122, v29, -v167
	ds_read2_b32 v[122:123], v97 offset1:96
	v_mul_f16_sdwa v178, v41, v26 dst_sel:DWORD dst_unused:UNUSED_PAD src0_sel:DWORD src1_sel:WORD_1
	s_waitcnt lgkmcnt(1)
	v_lshrrev_b32_e32 v175, 16, v118
	v_mul_f16_sdwa v176, v163, v26 dst_sel:DWORD dst_unused:UNUSED_PAD src0_sel:DWORD src1_sel:WORD_1
	s_waitcnt vmcnt(4)
	v_mul_f16_sdwa v177, v170, v120 dst_sel:DWORD dst_unused:UNUSED_PAD src0_sel:DWORD src1_sel:WORD_1
	v_mul_f16_sdwa v179, v129, v120 dst_sel:DWORD dst_unused:UNUSED_PAD src0_sel:DWORD src1_sel:WORD_1
	v_fmac_f16_e32 v178, v163, v26
	v_mul_f16_sdwa v180, v175, v24 dst_sel:DWORD dst_unused:UNUSED_PAD src0_sel:DWORD src1_sel:WORD_1
	v_fma_f16 v41, v41, v26, -v176
	v_fma_f16 v129, v129, v120, -v177
	v_mul_f16_sdwa v163, v118, v24 dst_sel:DWORD dst_unused:UNUSED_PAD src0_sel:DWORD src1_sel:WORD_1
	v_fmac_f16_e32 v179, v170, v120
	v_fma_f16 v118, v118, v24, -v180
	v_lshrrev_b32_e32 v166, 16, v125
	v_add_f16_e32 v170, v41, v129
	v_fmac_f16_e32 v163, v175, v24
	v_add_f16_e32 v177, v178, v179
	v_add_f16_e32 v175, v118, v41
	v_fmac_f16_e32 v139, v135, v29
	v_fmac_f16_e32 v118, -0.5, v170
	v_sub_f16_e32 v170, v178, v179
	v_mul_f16_sdwa v135, v166, v31 dst_sel:DWORD dst_unused:UNUSED_PAD src0_sel:DWORD src1_sel:WORD_1
	v_fmac_f16_e32 v174, v168, v27
	v_add_f16_e32 v168, v169, v126
	v_add_f16_e32 v178, v163, v178
	v_fmac_f16_e32 v163, -0.5, v177
	v_sub_f16_e32 v41, v41, v129
	v_fmamk_f16 v177, v170, 0x3aee, v118
	v_fmac_f16_e32 v118, 0xbaee, v170
	v_fma_f16 v135, v125, v31, -v135
	s_waitcnt lgkmcnt(0)
	v_lshrrev_b32_e32 v176, 16, v123
	v_add_f16_e32 v180, v123, v169
	v_fmac_f16_e32 v123, -0.5, v168
	v_sub_f16_e32 v168, v171, v174
	v_fmamk_f16 v170, v41, 0xbaee, v163
	v_fmac_f16_e32 v163, 0x3aee, v41
	v_mul_f16_e32 v41, -0.5, v118
	v_mul_f16_sdwa v125, v125, v31 dst_sel:DWORD dst_unused:UNUSED_PAD src0_sel:DWORD src1_sel:WORD_1
	v_fmamk_f16 v181, v168, 0x3aee, v123
	v_fmac_f16_e32 v123, 0xbaee, v168
	v_add_f16_e32 v168, v167, v135
	v_fmac_f16_e32 v41, 0x3aee, v163
	v_fmac_f16_e32 v125, v166, v31
	v_add_f16_e32 v131, v134, v164
	v_add_f16_e32 v133, v138, v162
	v_fma_f16 v166, -0.5, v168, v122
	v_add_f16_e32 v168, v123, v41
	v_sub_f16_e32 v41, v123, v41
	v_add_f16_e32 v123, v162, v165
	v_sub_f16_e32 v162, v162, v165
	v_lshrrev_b32_e32 v183, 16, v122
	v_add_f16_e32 v184, v139, v125
	v_add_f16_e32 v122, v122, v167
	v_fmac_f16_e32 v138, -0.5, v123
	v_add_f16_e32 v123, v137, v134
	v_sub_f16_e32 v134, v134, v164
	v_fmac_f16_e32 v137, -0.5, v131
	v_add_f16_e32 v131, v183, v139
	v_sub_f16_e32 v139, v139, v125
	v_fmac_f16_e32 v183, -0.5, v184
	v_fmamk_f16 v185, v134, 0xbaee, v138
	v_fmamk_f16 v186, v162, 0x3aee, v137
	v_sub_f16_e32 v167, v167, v135
	v_add_f16_e32 v123, v123, v164
	v_add_f16_e32 v164, v133, v165
	v_mul_f16_e32 v184, 0x3aee, v185
	v_mul_f16_e32 v187, 0xbaee, v186
	v_fmamk_f16 v165, v139, 0x3aee, v166
	v_fmac_f16_e32 v137, 0xbaee, v162
	v_fmac_f16_e32 v138, 0x3aee, v134
	v_fmac_f16_e32 v184, 0.5, v186
	v_fmac_f16_e32 v187, 0.5, v185
	v_fmamk_f16 v185, v167, 0xbaee, v183
	v_add_f16_e32 v125, v131, v125
	v_add_f16_e32 v122, v122, v135
	;; [unrolled: 1-line block ×3, first 2 shown]
	v_mul_f16_e32 v194, -0.5, v138
	v_add_f16_e32 v193, v185, v187
	v_cndmask_b32_e64 v131, 0, 0x168, vcc_lo
	v_add_f16_e32 v133, v122, v123
	v_add_f16_e32 v135, v125, v164
	v_fmac_f16_e32 v166, 0xbaee, v139
	v_pack_b32_f16 v186, v186, v193
	v_mul_f16_e32 v193, -0.5, v137
	v_fmac_f16_e32 v183, 0x3aee, v167
	v_fmac_f16_e32 v194, 0xbaee, v137
	v_add_lshl_u32 v131, v132, v131, 2
	v_pack_b32_f16 v162, v133, v135
	v_fmac_f16_e32 v193, 0x3aee, v138
	ds_read2_b32 v[132:133], v105 offset0:64 offset1:160
	v_add_f16_e32 v167, v183, v194
	ds_read2_b32 v[134:135], v98 offset0:128 offset1:224
	ds_read2_b32 v[138:139], v71 offset0:64 offset1:160
	v_add_f16_e32 v137, v166, v193
	s_waitcnt vmcnt(0) lgkmcnt(0)
	s_barrier
	buffer_gl0_inv
	ds_write2_b32 v131, v162, v186 offset1:60
	v_sub_f16_e32 v122, v122, v123
	v_sub_f16_e32 v123, v125, v164
	v_pack_b32_f16 v125, v137, v167
	v_sub_f16_e32 v137, v165, v184
	v_sub_f16_e32 v162, v166, v193
	;; [unrolled: 1-line block ×3, first 2 shown]
	v_add_f16_e32 v166, v176, v171
	v_add_f16_e32 v167, v171, v174
	v_pack_b32_f16 v122, v122, v123
	v_add_f16_e32 v129, v175, v129
	v_pack_b32_f16 v162, v162, v165
	v_add_f16_e32 v165, v166, v174
	v_fmac_f16_e32 v176, -0.5, v167
	v_add_f16_e32 v166, v180, v126
	v_sub_f16_e32 v126, v169, v126
	v_mul_f16_e32 v167, 0x3aee, v170
	v_mul_f16_e32 v169, 0xbaee, v177
	v_mov_b32_e32 v123, 0x168
	v_add_f16_e32 v171, v178, v179
	v_mul_f16_e32 v163, -0.5, v163
	v_fmac_f16_e32 v167, 0.5, v177
	v_fmac_f16_e32 v169, 0.5, v170
	v_fmamk_f16 v170, v126, 0xbaee, v176
	v_sub_f16_e32 v164, v185, v187
	v_mul_u32_u24_sdwa v123, v136, v123 dst_sel:DWORD dst_unused:UNUSED_PAD src0_sel:WORD_0 src1_sel:DWORD
	v_add_f16_e32 v136, v166, v129
	v_add_f16_e32 v174, v165, v171
	v_add_f16_e32 v175, v181, v167
	v_add_f16_e32 v177, v170, v169
	v_fmac_f16_e32 v176, 0x3aee, v126
	v_fmac_f16_e32 v163, 0xbaee, v118
	v_pack_b32_f16 v164, v137, v164
	v_add_nc_u32_e32 v137, 0x200, v131
	v_add_lshl_u32 v123, v123, v140, 2
	v_pack_b32_f16 v136, v136, v174
	v_pack_b32_f16 v140, v175, v177
	ds_write2_b32 v131, v125, v122 offset0:120 offset1:180
	ds_write2_b32 v137, v164, v162 offset0:112 offset1:172
	ds_write2_b32 v123, v136, v140 offset1:60
	v_sub_f16_e32 v118, v166, v129
	v_sub_f16_e32 v125, v165, v171
	;; [unrolled: 1-line block ×5, first 2 shown]
	v_add_f16_e32 v122, v176, v163
	v_pack_b32_f16 v118, v118, v125
	v_lshrrev_b32_e32 v125, 16, v119
	v_pack_b32_f16 v129, v126, v129
	v_pack_b32_f16 v41, v41, v136
	v_add_nc_u32_e32 v126, 0x200, v123
	v_lshrrev_b32_e32 v166, 16, v121
	v_mul_f16_sdwa v140, v125, v20 dst_sel:DWORD dst_unused:UNUSED_PAD src0_sel:DWORD src1_sel:WORD_1
	v_lshrrev_b32_e32 v169, 16, v124
	v_pack_b32_f16 v122, v168, v122
	ds_write2_b32 v126, v129, v41 offset0:112 offset1:172
	v_lshrrev_b32_e32 v129, 16, v128
	v_lshrrev_b32_e32 v136, 16, v42
	v_fma_f16 v41, v119, v20, -v140
	v_mul_f16_sdwa v119, v119, v20 dst_sel:DWORD dst_unused:UNUSED_PAD src0_sel:DWORD src1_sel:WORD_1
	v_lshrrev_b32_e32 v167, 16, v139
	v_mul_f16_sdwa v163, v129, v16 dst_sel:DWORD dst_unused:UNUSED_PAD src0_sel:DWORD src1_sel:WORD_1
	v_mul_f16_sdwa v168, v166, v18 dst_sel:DWORD dst_unused:UNUSED_PAD src0_sel:DWORD src1_sel:WORD_1
	;; [unrolled: 1-line block ×3, first 2 shown]
	ds_write2_b32 v123, v122, v118 offset0:120 offset1:180
	v_mul_f16_sdwa v118, v136, v22 dst_sel:DWORD dst_unused:UNUSED_PAD src0_sel:DWORD src1_sel:WORD_1
	v_fmac_f16_e32 v119, v125, v20
	v_lshrrev_b32_e32 v125, 16, v134
	v_lshrrev_b32_e32 v140, 16, v135
	v_fma_f16 v163, v128, v16, -v163
	v_mul_f16_sdwa v128, v128, v16 dst_sel:DWORD dst_unused:UNUSED_PAD src0_sel:DWORD src1_sel:WORD_1
	v_mul_f16_sdwa v171, v167, v19 dst_sel:DWORD dst_unused:UNUSED_PAD src0_sel:DWORD src1_sel:WORD_1
	v_fma_f16 v168, v121, v18, -v168
	v_mul_f16_sdwa v121, v121, v18 dst_sel:DWORD dst_unused:UNUSED_PAD src0_sel:DWORD src1_sel:WORD_1
	v_fma_f16 v174, v124, v115, -v174
	;; [unrolled: 2-line block ×3, first 2 shown]
	v_mul_f16_sdwa v42, v42, v22 dst_sel:DWORD dst_unused:UNUSED_PAD src0_sel:DWORD src1_sel:WORD_1
	v_mul_f16_sdwa v164, v125, v21 dst_sel:DWORD dst_unused:UNUSED_PAD src0_sel:DWORD src1_sel:WORD_1
	;; [unrolled: 1-line block ×3, first 2 shown]
	v_fma_f16 v171, v139, v19, -v171
	v_mul_f16_sdwa v139, v139, v19 dst_sel:DWORD dst_unused:UNUSED_PAD src0_sel:DWORD src1_sel:WORD_1
	v_fmac_f16_e32 v128, v129, v16
	v_fmac_f16_e32 v121, v166, v18
	;; [unrolled: 1-line block ×3, first 2 shown]
	v_add_f16_e32 v129, v168, v174
	v_lshrrev_b32_e32 v162, 16, v130
	v_fmac_f16_e32 v42, v136, v22
	v_mul_f16_sdwa v136, v134, v21 dst_sel:DWORD dst_unused:UNUSED_PAD src0_sel:DWORD src1_sel:WORD_1
	v_fma_f16 v134, v134, v21, -v164
	v_fma_f16 v164, v135, v17, -v165
	v_lshrrev_b32_e32 v165, 16, v138
	v_mul_f16_sdwa v135, v135, v17 dst_sel:DWORD dst_unused:UNUSED_PAD src0_sel:DWORD src1_sel:WORD_1
	v_fmac_f16_e32 v139, v167, v19
	v_add_f16_e32 v167, v163, v168
	v_add_f16_e32 v169, v121, v124
	v_fmac_f16_e32 v163, -0.5, v129
	v_sub_f16_e32 v129, v121, v124
	v_mul_f16_sdwa v122, v162, v117 dst_sel:DWORD dst_unused:UNUSED_PAD src0_sel:DWORD src1_sel:WORD_1
	v_mul_f16_sdwa v170, v165, v23 dst_sel:DWORD dst_unused:UNUSED_PAD src0_sel:DWORD src1_sel:WORD_1
	v_fmac_f16_e32 v135, v140, v17
	v_add_f16_e32 v140, v164, v171
	v_add_f16_e32 v121, v128, v121
	v_fmac_f16_e32 v128, -0.5, v169
	v_sub_f16_e32 v168, v168, v174
	v_fmamk_f16 v169, v129, 0x3aee, v163
	v_fmac_f16_e32 v163, 0xbaee, v129
	v_fma_f16 v122, v130, v117, -v122
	v_mul_f16_sdwa v130, v130, v117 dst_sel:DWORD dst_unused:UNUSED_PAD src0_sel:DWORD src1_sel:WORD_1
	v_fma_f16 v170, v138, v23, -v170
	v_lshrrev_b32_e32 v166, 16, v133
	v_add_f16_e32 v175, v133, v164
	v_fmac_f16_e32 v133, -0.5, v140
	v_sub_f16_e32 v129, v135, v139
	v_fmamk_f16 v140, v168, 0xbaee, v128
	v_fmac_f16_e32 v128, 0x3aee, v168
	v_mul_f16_e32 v168, -0.5, v163
	v_fmac_f16_e32 v130, v162, v117
	v_fmamk_f16 v176, v129, 0x3aee, v133
	v_fmac_f16_e32 v133, 0xbaee, v129
	v_add_f16_e32 v129, v134, v170
	v_fmac_f16_e32 v168, 0x3aee, v128
	v_mul_f16_sdwa v138, v138, v23 dst_sel:DWORD dst_unused:UNUSED_PAD src0_sel:DWORD src1_sel:WORD_1
	v_fmac_f16_e32 v136, v125, v21
	v_add_f16_e32 v177, v119, v42
	v_fma_f16 v125, -0.5, v129, v132
	v_add_f16_e32 v129, v133, v168
	v_sub_f16_e32 v162, v133, v168
	v_add_f16_e32 v133, v42, v130
	v_add_f16_e32 v168, v118, v122
	v_fmac_f16_e32 v138, v165, v23
	v_lshrrev_b32_e32 v165, 16, v132
	v_sub_f16_e32 v42, v42, v130
	v_fmac_f16_e32 v119, -0.5, v133
	v_add_f16_e32 v133, v41, v118
	v_sub_f16_e32 v118, v118, v122
	v_fmac_f16_e32 v41, -0.5, v168
	v_add_f16_e32 v168, v165, v136
	v_add_f16_e32 v178, v136, v138
	;; [unrolled: 1-line block ×3, first 2 shown]
	v_fmamk_f16 v179, v118, 0xbaee, v119
	v_fmamk_f16 v180, v42, 0x3aee, v41
	v_sub_f16_e32 v136, v136, v138
	v_add_f16_e32 v138, v168, v138
	v_fmac_f16_e32 v165, -0.5, v178
	v_mul_f16_e32 v168, 0x3aee, v179
	v_mul_f16_e32 v178, 0xbaee, v180
	v_sub_f16_e32 v134, v134, v170
	v_fmac_f16_e32 v41, 0xbaee, v42
	v_fmac_f16_e32 v119, 0x3aee, v118
	v_add_f16_e32 v132, v132, v170
	v_add_f16_e32 v130, v177, v130
	v_fmac_f16_e32 v168, 0.5, v180
	v_fmac_f16_e32 v178, 0.5, v179
	v_fmamk_f16 v170, v136, 0x3aee, v125
	v_mul_f16_e32 v177, -0.5, v41
	v_mul_f16_e32 v179, -0.5, v119
	v_fmac_f16_e32 v125, 0xbaee, v136
	v_fmamk_f16 v136, v134, 0xbaee, v165
	v_add_f16_e32 v122, v133, v122
	v_fmac_f16_e32 v177, 0x3aee, v119
	v_fmac_f16_e32 v179, 0xbaee, v41
	v_add_f16_e32 v41, v170, v168
	v_add_f16_e32 v119, v136, v178
	;; [unrolled: 1-line block ×4, first 2 shown]
	v_fmac_f16_e32 v165, 0x3aee, v134
	v_mad_u16 v133, 0x168, v141, v142
	v_pack_b32_f16 v41, v41, v119
	v_sub_f16_e32 v119, v132, v122
	v_sub_f16_e32 v122, v138, v130
	;; [unrolled: 1-line block ×4, first 2 shown]
	v_mul_f16_e32 v136, 0xbaee, v169
	v_sub_f16_e32 v138, v164, v171
	v_pack_b32_f16 v119, v119, v122
	v_add_f16_e32 v122, v166, v135
	v_add_f16_e32 v135, v135, v139
	v_pack_b32_f16 v42, v42, v118
	v_add_f16_e32 v118, v125, v177
	v_add_f16_e32 v134, v165, v179
	v_pack_b32_f16 v130, v130, v132
	v_fmac_f16_e32 v166, -0.5, v135
	v_mul_f16_e32 v135, 0x3aee, v140
	v_add_f16_e32 v122, v122, v139
	v_add_f16_e32 v132, v175, v171
	;; [unrolled: 1-line block ×4, first 2 shown]
	v_fmac_f16_e32 v135, 0.5, v169
	v_fmac_f16_e32 v136, 0.5, v140
	v_fmamk_f16 v140, v138, 0xbaee, v166
	v_lshlrev_b32_sdwa v133, v50, v133 dst_sel:DWORD dst_unused:UNUSED_PAD src0_sel:DWORD src1_sel:WORD_0
	v_pack_b32_f16 v118, v118, v134
	v_sub_f16_e32 v125, v125, v177
	v_sub_f16_e32 v134, v165, v179
	v_mul_f16_e32 v128, -0.5, v128
	v_add_f16_e32 v121, v132, v139
	v_add_f16_e32 v141, v122, v124
	;; [unrolled: 1-line block ×4, first 2 shown]
	v_pack_b32_f16 v125, v125, v134
	v_add_nc_u32_e32 v134, 0x200, v133
	v_fmac_f16_e32 v166, 0x3aee, v138
	v_fmac_f16_e32 v128, 0xbaee, v163
	v_pack_b32_f16 v141, v121, v141
	v_pack_b32_f16 v138, v142, v164
	v_lshlrev_b32_sdwa v121, v50, v143 dst_sel:DWORD dst_unused:UNUSED_PAD src0_sel:DWORD src1_sel:WORD_0
	ds_write2_b32 v133, v42, v41 offset1:60
	ds_write2_b32 v133, v118, v119 offset0:120 offset1:180
	v_add_f16_e32 v41, v166, v128
	ds_write2_b32 v134, v130, v125 offset0:112 offset1:172
	ds_write2_b32 v121, v141, v138 offset1:60
	v_sub_f16_e32 v42, v132, v139
	v_sub_f16_e32 v118, v122, v124
	v_add_f16_e32 v125, v145, v146
	v_pack_b32_f16 v41, v129, v41
	v_sub_f16_e32 v124, v166, v128
	v_mul_f16_e32 v129, 0xbaee, v156
	v_pack_b32_f16 v42, v42, v118
	v_add_f16_e32 v118, v151, v145
	v_fmac_f16_e32 v151, -0.5, v125
	v_mul_f16_e32 v125, 0x3aee, v159
	v_sub_f16_e32 v130, v147, v148
	v_sub_f16_e32 v122, v140, v136
	v_mul_f16_e32 v140, -0.5, v153
	v_sub_f16_e32 v119, v176, v135
	v_pack_b32_f16 v128, v162, v124
	v_add_f16_e32 v118, v118, v146
	v_add_f16_e32 v124, v154, v148
	;; [unrolled: 1-line block ×4, first 2 shown]
	v_fmac_f16_e32 v125, 0.5, v156
	v_fmac_f16_e32 v129, 0.5, v159
	v_fmamk_f16 v136, v130, 0xbaee, v151
	v_fmac_f16_e32 v151, 0x3aee, v130
	v_fmac_f16_e32 v140, 0xbaee, v152
	v_add_f16_e32 v138, v124, v132
	v_add_f16_e32 v139, v118, v135
	v_add_f16_e32 v141, v158, v125
	v_add_f16_e32 v142, v136, v129
	v_sub_f16_e32 v132, v124, v132
	v_sub_f16_e32 v118, v118, v135
	v_add_f16_e32 v135, v151, v140
	v_sub_f16_e32 v125, v158, v125
	v_sub_f16_e32 v129, v136, v129
	;; [unrolled: 1-line block ×3, first 2 shown]
	v_lshlrev_b32_sdwa v124, v50, v52 dst_sel:DWORD dst_unused:UNUSED_PAD src0_sel:DWORD src1_sel:WORD_0
	v_pack_b32_f16 v119, v119, v122
	v_add_nc_u32_e32 v122, 0x200, v121
	v_pack_b32_f16 v116, v138, v139
	v_pack_b32_f16 v130, v141, v142
	;; [unrolled: 1-line block ×6, first 2 shown]
	v_add_nc_u32_e32 v125, 0x200, v124
	ds_write2_b32 v121, v41, v42 offset0:120 offset1:180
	ds_write2_b32 v122, v119, v128 offset0:112 offset1:172
	ds_write2_b32 v124, v116, v130 offset1:60
	ds_write2_b32 v124, v52, v118 offset0:120 offset1:180
	ds_write2_b32 v125, v129, v132 offset0:112 offset1:172
	s_waitcnt lgkmcnt(0)
	s_barrier
	buffer_gl0_inv
	s_clause 0x1
	global_load_dword v118, v97, s[2:3] offset:1400
	global_load_dword v119, v97, s[2:3] offset:1784
	v_add_co_u32 v52, s0, s2, v97
	v_add_co_ci_u32_e64 v185, null, s3, 0, s0
	v_mov_b32_e32 v128, 0x2d83
	v_add_co_u32 v140, s0, 0x2a0, v94
	v_add_co_u32 v41, vcc_lo, 0x800, v52
	v_add_co_ci_u32_e32 v42, vcc_lo, 0, v185, vcc_lo
	v_mul_u32_u24_sdwa v129, v140, v128 dst_sel:DWORD dst_unused:UNUSED_PAD src0_sel:WORD_0 src1_sel:DWORD
	v_add_co_ci_u32_e64 v186, null, 0, 0, s0
	v_add_co_u32 v130, s0, 0xffffffb8, v94
	v_add_co_ci_u32_e64 v132, null, 0, -1, s0
	v_cmp_gt_u16_e32 vcc_lo, 0x48, v49
	global_load_dword v116, v[41:42], off offset:120
	v_lshrrev_b32_e32 v164, 22, v129
	v_add_co_u32 v138, null, 0x420, v94
	v_cndmask_b32_e32 v148, v132, v127, vcc_lo
	v_cndmask_b32_e32 v147, v130, v51, vcc_lo
	v_mul_lo_u16 v127, 0x168, v164
	v_add_nc_u32_e32 v132, 0x3c0, v94
	v_mul_u32_u24_e32 v139, 0x2d83, v86
	v_lshlrev_b64 v[129:130], 2, v[147:148]
	v_sub_nc_u16 v51, v140, v127
	v_mul_u32_u24_sdwa v135, v132, v128 dst_sel:DWORD dst_unused:UNUSED_PAD src0_sel:WORD_0 src1_sel:DWORD
	v_lshrrev_b32_e32 v139, 22, v139
	v_add_co_u32 v129, vcc_lo, s2, v129
	v_lshlrev_b32_sdwa v127, v50, v51 dst_sel:DWORD dst_unused:UNUSED_PAD src0_sel:DWORD src1_sel:WORD_0
	v_add_co_ci_u32_e32 v130, vcc_lo, s3, v130, vcc_lo
	s_clause 0x4
	global_load_dword v141, v127, s[2:3] offset:1400
	global_load_dword v155, v[129:130], off offset:1400
	global_load_dword v143, v[41:42], off offset:216
	global_load_dword v151, v97, s[2:3] offset:1880
	global_load_dword v152, v97, s[2:3] offset:1496
	v_add_nc_u32_e32 v127, 0x360, v94
	v_mul_u32_u24_e32 v129, 0x2d83, v58
	v_lshrrev_b32_e32 v135, 22, v135
	v_mul_lo_u16 v139, 0x168, v139
	v_cmp_lt_u16_e32 vcc_lo, 0x47, v49
	v_mul_u32_u24_sdwa v130, v127, v128 dst_sel:DWORD dst_unused:UNUSED_PAD src0_sel:WORD_0 src1_sel:DWORD
	v_lshrrev_b32_e32 v129, 22, v129
	v_mad_u16 v51, 0x2d0, v164, v51
	v_lshrrev_b32_e32 v130, 22, v130
	v_mul_lo_u16 v129, 0x168, v129
	v_lshlrev_b32_sdwa v164, v50, v51 dst_sel:DWORD dst_unused:UNUSED_PAD src0_sel:DWORD src1_sel:WORD_0
	v_mul_lo_u16 v130, 0x168, v130
	v_sub_nc_u16 v129, v58, v129
	v_sub_nc_u16 v127, v127, v130
	v_mul_lo_u16 v130, 0x168, v135
	v_lshlrev_b32_sdwa v136, v50, v129 dst_sel:DWORD dst_unused:UNUSED_PAD src0_sel:DWORD src1_sel:WORD_0
	v_add_nc_u32_e32 v129, 0x4e0, v94
	v_lshlrev_b32_sdwa v135, v50, v127 dst_sel:DWORD dst_unused:UNUSED_PAD src0_sel:DWORD src1_sel:WORD_0
	v_mul_u32_u24_sdwa v127, v138, v128 dst_sel:DWORD dst_unused:UNUSED_PAD src0_sel:WORD_0 src1_sel:DWORD
	v_sub_nc_u16 v130, v132, v130
	v_add_nc_u32_e32 v132, 0x540, v94
	global_load_dword v145, v136, s[2:3] offset:1400
	v_lshrrev_b32_e32 v171, 22, v127
	v_mul_u32_u24_sdwa v127, v129, v128 dst_sel:DWORD dst_unused:UNUSED_PAD src0_sel:WORD_0 src1_sel:DWORD
	v_mul_u32_u24_sdwa v128, v132, v128 dst_sel:DWORD dst_unused:UNUSED_PAD src0_sel:WORD_0 src1_sel:DWORD
	v_lshlrev_b32_sdwa v130, v50, v130 dst_sel:DWORD dst_unused:UNUSED_PAD src0_sel:DWORD src1_sel:WORD_0
	v_mul_lo_u16 v142, 0x168, v171
	v_lshrrev_b32_e32 v127, 22, v127
	v_lshrrev_b32_e32 v128, 22, v128
	global_load_dword v144, v130, s[2:3] offset:1400
	v_sub_nc_u16 v187, v138, v142
	v_sub_nc_u16 v138, v86, v139
	v_mul_lo_u16 v127, 0x168, v127
	v_mul_lo_u16 v128, 0x168, v128
	v_lshlrev_b32_sdwa v139, v50, v187 dst_sel:DWORD dst_unused:UNUSED_PAD src0_sel:DWORD src1_sel:WORD_0
	v_sub_nc_u16 v127, v129, v127
	v_sub_nc_u16 v132, v132, v128
	v_lshlrev_b32_sdwa v128, v50, v138 dst_sel:DWORD dst_unused:UNUSED_PAD src0_sel:DWORD src1_sel:WORD_0
	s_clause 0x1
	global_load_dword v146, v139, s[2:3] offset:1400
	global_load_dword v148, v135, s[2:3] offset:1400
	v_lshlrev_b32_sdwa v129, v50, v127 dst_sel:DWORD dst_unused:UNUSED_PAD src0_sel:DWORD src1_sel:WORD_0
	v_lshlrev_b32_sdwa v127, v50, v132 dst_sel:DWORD dst_unused:UNUSED_PAD src0_sel:DWORD src1_sel:WORD_0
	s_clause 0x2
	global_load_dword v142, v128, s[2:3] offset:1400
	global_load_dword v139, v129, s[2:3] offset:1400
	;; [unrolled: 1-line block ×3, first 2 shown]
	ds_read2_b32 v[149:150], v99 offset0:64 offset1:160
	ds_read2_b32 v[153:154], v76 offset1:96
	ds_read2_b32 v[156:157], v97 offset1:96
	s_waitcnt lgkmcnt(2)
	v_lshrrev_b32_e32 v132, 16, v150
	s_waitcnt lgkmcnt(1)
	v_lshrrev_b32_e32 v158, 16, v153
	s_waitcnt vmcnt(14)
	v_mul_f16_sdwa v159, v150, v118 dst_sel:DWORD dst_unused:UNUSED_PAD src0_sel:DWORD src1_sel:WORD_1
	v_mul_f16_sdwa v160, v132, v118 dst_sel:DWORD dst_unused:UNUSED_PAD src0_sel:DWORD src1_sel:WORD_1
	s_waitcnt vmcnt(13)
	v_mul_f16_sdwa v161, v153, v119 dst_sel:DWORD dst_unused:UNUSED_PAD src0_sel:DWORD src1_sel:WORD_1
	v_mul_f16_sdwa v162, v158, v119 dst_sel:DWORD dst_unused:UNUSED_PAD src0_sel:DWORD src1_sel:WORD_1
	v_fmac_f16_e32 v159, v132, v118
	v_fma_f16 v132, v150, v118, -v160
	s_waitcnt lgkmcnt(0)
	v_lshrrev_b32_e32 v150, 16, v156
	v_fmac_f16_e32 v161, v158, v119
	v_fma_f16 v153, v153, v119, -v162
	v_lshrrev_b32_e32 v160, 16, v157
	v_sub_f16_e32 v132, v156, v132
	v_sub_f16_e32 v162, v150, v159
	ds_read2_b32 v[158:159], v105 offset0:64 offset1:160
	v_sub_f16_e32 v165, v157, v153
	v_sub_f16_e32 v166, v160, v161
	v_fma_f16 v153, v156, 2.0, -v132
	v_fma_f16 v150, v150, 2.0, -v162
	v_pack_b32_f16 v132, v132, v162
	v_fma_f16 v156, v157, 2.0, -v165
	v_fma_f16 v157, v160, 2.0, -v166
	s_waitcnt vmcnt(12)
	v_mul_f16_sdwa v180, v154, v116 dst_sel:DWORD dst_unused:UNUSED_PAD src0_sel:DWORD src1_sel:WORD_1
	v_pack_b32_f16 v150, v153, v150
	v_lshrrev_b32_e32 v153, 16, v154
	v_pack_b32_f16 v193, v156, v157
	ds_read2_b32 v[156:157], v93 offset0:64 offset1:160
	ds_read2_b32 v[160:161], v82 offset0:128 offset1:224
	;; [unrolled: 1-line block ×3, first 2 shown]
	v_mul_f16_sdwa v176, v153, v116 dst_sel:DWORD dst_unused:UNUSED_PAD src0_sel:DWORD src1_sel:WORD_1
	v_fmac_f16_e32 v180, v153, v116
	ds_read2_b32 v[167:168], v103 offset0:64 offset1:160
	ds_read2_b32 v[169:170], v71 offset0:64 offset1:160
	ds_read2_b32 v[174:175], v104 offset1:96
	s_waitcnt lgkmcnt(6)
	v_lshrrev_b32_e32 v194, 16, v158
	v_fma_f16 v181, v154, v116, -v176
	ds_read2_b32 v[153:154], v88 offset1:96
	ds_read2_b32 v[176:177], v79 offset0:64 offset1:160
	ds_read2_b32 v[178:179], v89 offset0:64 offset1:160
	v_sub_f16_e32 v195, v194, v180
	v_sub_f16_e32 v196, v158, v181
	ds_read2_b32 v[180:181], v98 offset0:128 offset1:224
	ds_read2_b32 v[183:184], v68 offset0:128 offset1:224
	s_waitcnt vmcnt(0) lgkmcnt(0)
	s_barrier
	v_fma_f16 v194, v194, 2.0, -v195
	v_fma_f16 v158, v158, 2.0, -v196
	buffer_gl0_inv
	ds_write_b32 v97, v132 offset:1440
	ds_write2_b32 v97, v150, v193 offset1:96
	v_pack_b32_f16 v150, v165, v166
	v_lshrrev_b32_e32 v193, 16, v156
	v_pack_b32_f16 v132, v158, v194
	v_lshrrev_b32_e32 v194, 16, v157
	v_cndmask_b32_e64 v166, 0, 0x2d0, vcc_lo
	v_pack_b32_f16 v158, v196, v195
	v_add_nc_u32_e32 v165, 0x600, v97
	ds_write_b32 v97, v132 offset:768
	ds_write2_b32 v165, v150, v158 offset0:72 offset1:168
	v_mul_f16_sdwa v132, v193, v155 dst_sel:DWORD dst_unused:UNUSED_PAD src0_sel:DWORD src1_sel:WORD_1
	v_mul_f16_sdwa v150, v194, v152 dst_sel:DWORD dst_unused:UNUSED_PAD src0_sel:DWORD src1_sel:WORD_1
	v_add_lshl_u32 v166, v147, v166, 2
	v_lshrrev_b32_e32 v147, 16, v162
	v_mul_f16_sdwa v158, v156, v155 dst_sel:DWORD dst_unused:UNUSED_PAD src0_sel:DWORD src1_sel:WORD_1
	v_fma_f16 v132, v156, v155, -v132
	v_fma_f16 v150, v157, v152, -v150
	v_mul_f16_sdwa v156, v157, v152 dst_sel:DWORD dst_unused:UNUSED_PAD src0_sel:DWORD src1_sel:WORD_1
	v_mul_f16_sdwa v157, v147, v151 dst_sel:DWORD dst_unused:UNUSED_PAD src0_sel:DWORD src1_sel:WORD_1
	v_fmac_f16_e32 v158, v193, v155
	v_mul_f16_sdwa v193, v162, v151 dst_sel:DWORD dst_unused:UNUSED_PAD src0_sel:DWORD src1_sel:WORD_1
	v_lshrrev_b32_e32 v195, 16, v163
	v_sub_f16_e32 v132, v159, v132
	v_fma_f16 v157, v162, v151, -v157
	v_lshrrev_b32_e32 v162, 16, v159
	v_fmac_f16_e32 v156, v194, v152
	v_fmac_f16_e32 v193, v147, v151
	v_sub_f16_e32 v147, v160, v150
	v_sub_f16_e32 v150, v161, v157
	v_lshrrev_b32_e32 v157, 16, v160
	v_lshrrev_b32_e32 v194, 16, v161
	v_sub_f16_e32 v158, v162, v158
	v_mul_f16_sdwa v196, v163, v143 dst_sel:DWORD dst_unused:UNUSED_PAD src0_sel:DWORD src1_sel:WORD_1
	v_mul_f16_sdwa v197, v195, v143 dst_sel:DWORD dst_unused:UNUSED_PAD src0_sel:DWORD src1_sel:WORD_1
	v_fma_f16 v159, v159, 2.0, -v132
	v_sub_f16_e32 v156, v157, v156
	v_fma_f16 v162, v162, 2.0, -v158
	v_sub_f16_e32 v193, v194, v193
	v_fmac_f16_e32 v196, v195, v143
	v_lshrrev_b32_e32 v195, 16, v167
	v_fma_f16 v163, v163, v143, -v197
	v_fma_f16 v160, v160, 2.0, -v147
	v_fma_f16 v161, v161, 2.0, -v150
	v_pack_b32_f16 v159, v159, v162
	v_fma_f16 v157, v157, 2.0, -v156
	v_fma_f16 v162, v194, 2.0, -v193
	v_sub_f16_e32 v194, v195, v196
	v_sub_f16_e32 v163, v167, v163
	v_pack_b32_f16 v132, v132, v158
	v_pack_b32_f16 v157, v160, v157
	;; [unrolled: 1-line block ×3, first 2 shown]
	v_fma_f16 v160, v195, 2.0, -v194
	v_fma_f16 v161, v167, 2.0, -v163
	ds_write_b32 v166, v159
	ds_write_b32 v166, v132 offset:1440
	v_pack_b32_f16 v132, v147, v156
	v_lshrrev_b32_e32 v159, 16, v170
	v_pack_b32_f16 v150, v150, v193
	v_pack_b32_f16 v156, v161, v160
	;; [unrolled: 1-line block ×3, first 2 shown]
	v_lshrrev_b32_e32 v147, 16, v169
	ds_write2_b32 v107, v157, v158 offset0:104 offset1:200
	v_mul_f16_sdwa v157, v159, v145 dst_sel:DWORD dst_unused:UNUSED_PAD src0_sel:DWORD src1_sel:WORD_1
	ds_write2_b32 v79, v156, v132 offset0:40 offset1:208
	ds_write2_b32 v106, v150, v160 offset0:48 offset1:144
	v_mul_f16_sdwa v150, v169, v141 dst_sel:DWORD dst_unused:UNUSED_PAD src0_sel:DWORD src1_sel:WORD_1
	v_mul_f16_sdwa v161, v147, v141 dst_sel:DWORD dst_unused:UNUSED_PAD src0_sel:DWORD src1_sel:WORD_1
	v_lshrrev_b32_e32 v162, 16, v178
	v_fma_f16 v156, v170, v145, -v157
	v_lshrrev_b32_e32 v157, 16, v153
	v_fmac_f16_e32 v150, v147, v141
	v_mul_f16_sdwa v147, v153, v148 dst_sel:DWORD dst_unused:UNUSED_PAD src0_sel:DWORD src1_sel:WORD_1
	v_fma_f16 v132, v169, v141, -v161
	v_lshrrev_b32_e32 v163, 16, v183
	v_mul_f16_sdwa v161, v157, v148 dst_sel:DWORD dst_unused:UNUSED_PAD src0_sel:DWORD src1_sel:WORD_1
	v_mul_f16_sdwa v158, v170, v145 dst_sel:DWORD dst_unused:UNUSED_PAD src0_sel:DWORD src1_sel:WORD_1
	v_fmac_f16_e32 v147, v157, v148
	v_lshrrev_b32_e32 v157, 16, v179
	v_lshrrev_b32_e32 v160, 16, v154
	v_fma_f16 v153, v153, v148, -v161
	v_mul_f16_sdwa v161, v162, v146 dst_sel:DWORD dst_unused:UNUSED_PAD src0_sel:DWORD src1_sel:WORD_1
	v_lshrrev_b32_e32 v167, 16, v184
	v_mul_f16_sdwa v169, v157, v142 dst_sel:DWORD dst_unused:UNUSED_PAD src0_sel:DWORD src1_sel:WORD_1
	v_mul_f16_sdwa v170, v163, v139 dst_sel:DWORD dst_unused:UNUSED_PAD src0_sel:DWORD src1_sel:WORD_1
	v_fmac_f16_e32 v158, v159, v145
	v_fma_f16 v161, v178, v146, -v161
	v_mul_f16_sdwa v178, v178, v146 dst_sel:DWORD dst_unused:UNUSED_PAD src0_sel:DWORD src1_sel:WORD_1
	v_fma_f16 v169, v179, v142, -v169
	v_mul_f16_sdwa v179, v179, v142 dst_sel:DWORD dst_unused:UNUSED_PAD src0_sel:DWORD src1_sel:WORD_1
	v_mul_f16_sdwa v159, v160, v144 dst_sel:DWORD dst_unused:UNUSED_PAD src0_sel:DWORD src1_sel:WORD_1
	;; [unrolled: 1-line block ×3, first 2 shown]
	v_fma_f16 v170, v183, v139, -v170
	v_mul_f16_sdwa v183, v183, v139 dst_sel:DWORD dst_unused:UNUSED_PAD src0_sel:DWORD src1_sel:WORD_1
	v_fmac_f16_e32 v179, v157, v142
	v_lshrrev_b32_e32 v157, 16, v168
	v_fmac_f16_e32 v178, v162, v146
	v_lshrrev_b32_e32 v162, 16, v174
	v_fma_f16 v159, v154, v144, -v159
	v_mul_f16_sdwa v154, v154, v144 dst_sel:DWORD dst_unused:UNUSED_PAD src0_sel:DWORD src1_sel:WORD_1
	v_fma_f16 v193, v184, v138, -v193
	v_mul_f16_sdwa v184, v184, v138 dst_sel:DWORD dst_unused:UNUSED_PAD src0_sel:DWORD src1_sel:WORD_1
	v_sub_f16_e32 v132, v168, v132
	v_fmac_f16_e32 v183, v163, v139
	v_sub_f16_e32 v156, v174, v156
	v_lshrrev_b32_e32 v163, 16, v175
	v_sub_f16_e32 v150, v157, v150
	v_sub_f16_e32 v158, v162, v158
	v_fmac_f16_e32 v154, v160, v144
	v_fmac_f16_e32 v184, v167, v138
	v_fma_f16 v160, v168, 2.0, -v132
	v_sub_f16_e32 v153, v175, v153
	v_fma_f16 v167, v174, 2.0, -v156
	v_lshrrev_b32_e32 v174, 16, v176
	v_fma_f16 v157, v157, 2.0, -v150
	v_sub_f16_e32 v147, v163, v147
	v_fma_f16 v162, v162, 2.0, -v158
	v_sub_f16_e32 v159, v176, v159
	v_fma_f16 v168, v175, 2.0, -v153
	v_lshrrev_b32_e32 v175, 16, v177
	v_pack_b32_f16 v157, v160, v157
	v_fma_f16 v160, v163, 2.0, -v147
	v_pack_b32_f16 v51, v132, v150
	v_sub_f16_e32 v154, v174, v154
	v_pack_b32_f16 v132, v167, v162
	v_sub_f16_e32 v161, v177, v161
	v_fma_f16 v176, v176, 2.0, -v159
	v_pack_b32_f16 v150, v156, v158
	v_pack_b32_f16 v156, v168, v160
	ds_write_b32 v164, v157
	ds_write_b32 v164, v51 offset:1440
	ds_write_b32 v136, v132 offset:5760
	v_sub_f16_e32 v51, v175, v178
	v_fma_f16 v132, v174, 2.0, -v154
	v_lshrrev_b32_e32 v194, 16, v180
	v_pack_b32_f16 v147, v153, v147
	v_fma_f16 v177, v177, 2.0, -v161
	v_lshrrev_b32_e32 v195, 16, v181
	ds_write_b32 v136, v150 offset:7200
	ds_write_b32 v135, v156 offset:5760
	v_mad_u16 v150, 0x2d0, v171, v187
	v_fma_f16 v156, v175, 2.0, -v51
	v_pack_b32_f16 v132, v176, v132
	v_lshrrev_b32_e32 v196, 16, v149
	v_sub_f16_e32 v169, v180, v169
	v_pack_b32_f16 v153, v159, v154
	ds_write_b32 v135, v147 offset:7200
	v_sub_f16_e32 v147, v194, v179
	v_sub_f16_e32 v170, v181, v170
	v_lshlrev_b32_sdwa v157, v50, v150 dst_sel:DWORD dst_unused:UNUSED_PAD src0_sel:DWORD src1_sel:WORD_0
	v_pack_b32_f16 v50, v177, v156
	ds_write_b32 v130, v132 offset:5760
	v_sub_f16_e32 v132, v195, v183
	v_sub_f16_e32 v193, v149, v193
	v_pack_b32_f16 v51, v161, v51
	v_sub_f16_e32 v150, v196, v184
	v_fma_f16 v180, v180, 2.0, -v169
	ds_write_b32 v130, v153 offset:7200
	v_fma_f16 v153, v194, 2.0, -v147
	v_fma_f16 v181, v181, 2.0, -v170
	ds_write_b32 v157, v50
	v_fma_f16 v50, v195, 2.0, -v132
	v_fma_f16 v149, v149, 2.0, -v193
	ds_write_b32 v157, v51 offset:1440
	v_fma_f16 v51, v196, 2.0, -v150
	v_pack_b32_f16 v153, v180, v153
	v_pack_b32_f16 v147, v169, v147
	;; [unrolled: 1-line block ×6, first 2 shown]
	ds_write_b32 v128, v153 offset:8640
	ds_write_b32 v128, v147 offset:10080
	;; [unrolled: 1-line block ×6, first 2 shown]
	s_waitcnt lgkmcnt(0)
	s_barrier
	buffer_gl0_inv
	s_clause 0x3
	global_load_dword v132, v[41:42], off offset:792
	global_load_dword v147, v[41:42], off offset:1176
	;; [unrolled: 1-line block ×4, first 2 shown]
	v_add_co_u32 v50, vcc_lo, 0x1000, v52
	v_add_co_ci_u32_e32 v51, vcc_lo, 0, v185, vcc_lo
	s_clause 0x1
	global_load_dword v171, v[50:51], off offset:280
	global_load_dword v170, v[50:51], off offset:664
	v_add_co_u32 v149, s0, 0xffffffd0, v94
	v_add_co_ci_u32_e64 v154, null, 0, -1, s0
	v_cmp_gt_u16_e32 vcc_lo, 48, v49
	global_load_dword v167, v[50:51], off offset:1048
	v_cndmask_b32_e32 v162, v154, v186, vcc_lo
	v_cndmask_b32_e32 v161, v149, v140, vcc_lo
	v_lshlrev_b64 v[158:159], 2, v[161:162]
	v_add_co_u32 v140, vcc_lo, s2, v158
	v_add_co_ci_u32_e32 v149, vcc_lo, s3, v159, vcc_lo
	s_mov_b32 s2, 0x16c16c17
	v_add_co_u32 v158, vcc_lo, 0x800, v140
	v_add_co_ci_u32_e32 v159, vcc_lo, 0, v149, vcc_lo
	s_clause 0x7
	global_load_dword v168, v[158:159], off offset:792
	global_load_dword v158, v[50:51], off offset:88
	;; [unrolled: 1-line block ×8, first 2 shown]
	ds_read2_b32 v[41:42], v99 offset0:64 offset1:160
	ds_read2_b32 v[174:175], v76 offset1:96
	ds_read2_b32 v[176:177], v97 offset1:96
	v_cmp_lt_u16_e32 vcc_lo, 47, v49
	s_mov_b32 s3, 0x3f36c16c
	v_cndmask_b32_e64 v49, 0, 0x5a0, vcc_lo
	s_waitcnt lgkmcnt(2)
	v_lshrrev_b32_e32 v149, 16, v42
	s_waitcnt lgkmcnt(1)
	v_lshrrev_b32_e32 v154, 16, v174
	s_waitcnt vmcnt(14)
	v_mul_f16_sdwa v169, v42, v132 dst_sel:DWORD dst_unused:UNUSED_PAD src0_sel:DWORD src1_sel:WORD_1
	v_mul_f16_sdwa v178, v149, v132 dst_sel:DWORD dst_unused:UNUSED_PAD src0_sel:DWORD src1_sel:WORD_1
	s_waitcnt vmcnt(13)
	v_mul_f16_sdwa v179, v154, v147 dst_sel:DWORD dst_unused:UNUSED_PAD src0_sel:DWORD src1_sel:WORD_1
	v_mul_f16_sdwa v180, v174, v147 dst_sel:DWORD dst_unused:UNUSED_PAD src0_sel:DWORD src1_sel:WORD_1
	s_waitcnt vmcnt(12)
	v_mul_f16_sdwa v209, v175, v150 dst_sel:DWORD dst_unused:UNUSED_PAD src0_sel:DWORD src1_sel:WORD_1
	v_fmac_f16_e32 v169, v149, v132
	v_fma_f16 v42, v42, v132, -v178
	s_waitcnt lgkmcnt(0)
	v_lshrrev_b32_e32 v149, 16, v176
	v_fma_f16 v174, v174, v147, -v179
	v_fmac_f16_e32 v180, v154, v147
	v_lshrrev_b32_e32 v154, 16, v177
	v_sub_f16_e32 v42, v176, v42
	v_sub_f16_e32 v169, v149, v169
	;; [unrolled: 1-line block ×4, first 2 shown]
	v_fma_f16 v176, v176, 2.0, -v42
	v_fma_f16 v149, v149, 2.0, -v169
	;; [unrolled: 1-line block ×3, first 2 shown]
	v_pack_b32_f16 v42, v42, v169
	v_fma_f16 v154, v154, 2.0, -v207
	v_lshrrev_b32_e32 v169, 16, v175
	v_pack_b32_f16 v149, v176, v149
	ds_read2_b32 v[176:177], v93 offset0:64 offset1:160
	v_pack_b32_f16 v154, v178, v154
	ds_read2_b32 v[178:179], v105 offset0:64 offset1:160
	ds_read2_b32 v[180:181], v82 offset0:128 offset1:224
	;; [unrolled: 1-line block ×5, first 2 shown]
	ds_read2_b32 v[195:196], v104 offset1:96
	ds_read2_b32 v[197:198], v88 offset1:96
	ds_read2_b32 v[199:200], v79 offset0:64 offset1:160
	v_mul_f16_sdwa v208, v169, v150 dst_sel:DWORD dst_unused:UNUSED_PAD src0_sel:DWORD src1_sel:WORD_1
	v_fmac_f16_e32 v209, v169, v150
	ds_read2_b32 v[201:202], v89 offset0:64 offset1:160
	ds_read2_b32 v[203:204], v98 offset0:128 offset1:224
	;; [unrolled: 1-line block ×3, first 2 shown]
	s_waitcnt vmcnt(0) lgkmcnt(0)
	s_barrier
	v_fma_f16 v175, v175, v150, -v208
	buffer_gl0_inv
	ds_write_b32 v97, v42 offset:2880
	ds_write2_b32 v97, v149, v154 offset1:96
	v_pack_b32_f16 v149, v174, v207
	v_lshrrev_b32_e32 v169, 16, v178
	v_sub_f16_e32 v42, v178, v175
	v_lshrrev_b32_e32 v210, 16, v176
	v_mul_f16_sdwa v208, v176, v153 dst_sel:DWORD dst_unused:UNUSED_PAD src0_sel:DWORD src1_sel:WORD_1
	v_sub_f16_e32 v175, v169, v209
	v_lshrrev_b32_e32 v209, 16, v179
	v_lshrrev_b32_e32 v207, 16, v177
	v_mul_f16_sdwa v211, v210, v153 dst_sel:DWORD dst_unused:UNUSED_PAD src0_sel:DWORD src1_sel:WORD_1
	v_fmac_f16_e32 v208, v210, v153
	v_pack_b32_f16 v154, v42, v175
	v_fma_f16 v169, v169, 2.0, -v175
	v_fma_f16 v42, v178, 2.0, -v42
	v_fma_f16 v176, v176, v153, -v211
	ds_write2_b32 v104, v149, v154 offset0:48 offset1:144
	v_mul_f16_sdwa v149, v177, v171 dst_sel:DWORD dst_unused:UNUSED_PAD src0_sel:DWORD src1_sel:WORD_1
	v_pack_b32_f16 v42, v42, v169
	v_sub_f16_e32 v174, v179, v176
	v_sub_f16_e32 v176, v209, v208
	v_fmac_f16_e32 v149, v207, v171
	v_fma_f16 v175, v179, 2.0, -v174
	v_fma_f16 v178, v209, 2.0, -v176
	v_mul_f16_sdwa v179, v207, v171 dst_sel:DWORD dst_unused:UNUSED_PAD src0_sel:DWORD src1_sel:WORD_1
	v_pack_b32_f16 v174, v174, v176
	v_pack_b32_f16 v154, v175, v178
	v_lshrrev_b32_e32 v175, 16, v183
	v_mul_f16_sdwa v178, v183, v170 dst_sel:DWORD dst_unused:UNUSED_PAD src0_sel:DWORD src1_sel:WORD_1
	v_fma_f16 v169, v177, v171, -v179
	v_lshrrev_b32_e32 v177, 16, v180
	v_lshrrev_b32_e32 v179, 16, v181
	v_mul_f16_sdwa v176, v175, v170 dst_sel:DWORD dst_unused:UNUSED_PAD src0_sel:DWORD src1_sel:WORD_1
	v_fmac_f16_e32 v178, v175, v170
	v_lshrrev_b32_e32 v175, 16, v184
	v_sub_f16_e32 v169, v180, v169
	v_sub_f16_e32 v149, v177, v149
	v_fma_f16 v176, v183, v170, -v176
	v_mul_f16_sdwa v183, v184, v167 dst_sel:DWORD dst_unused:UNUSED_PAD src0_sel:DWORD src1_sel:WORD_1
	v_mul_f16_sdwa v207, v175, v167 dst_sel:DWORD dst_unused:UNUSED_PAD src0_sel:DWORD src1_sel:WORD_1
	v_sub_f16_e32 v178, v179, v178
	v_fma_f16 v177, v177, 2.0, -v149
	v_sub_f16_e32 v176, v181, v176
	v_fmac_f16_e32 v183, v175, v167
	v_lshrrev_b32_e32 v175, 16, v186
	v_fma_f16 v184, v184, v167, -v207
	v_fma_f16 v180, v180, 2.0, -v169
	v_fma_f16 v181, v181, 2.0, -v176
	;; [unrolled: 1-line block ×3, first 2 shown]
	v_sub_f16_e32 v183, v175, v183
	v_sub_f16_e32 v184, v186, v184
	v_pack_b32_f16 v149, v169, v149
	v_pack_b32_f16 v169, v180, v177
	;; [unrolled: 1-line block ×3, first 2 shown]
	v_fma_f16 v175, v175, 2.0, -v183
	v_fma_f16 v179, v186, 2.0, -v184
	ds_write2_b32 v105, v42, v154 offset0:64 offset1:160
	ds_write2_b32 v79, v174, v149 offset0:112 offset1:208
	v_lshrrev_b32_e32 v42, 16, v193
	ds_write2_b32 v82, v169, v177 offset0:128 offset1:224
	v_pack_b32_f16 v154, v176, v178
	v_pack_b32_f16 v149, v179, v175
	;; [unrolled: 1-line block ×3, first 2 shown]
	v_mul_f16_sdwa v174, v42, v168 dst_sel:DWORD dst_unused:UNUSED_PAD src0_sel:DWORD src1_sel:WORD_1
	v_mul_f16_sdwa v175, v193, v168 dst_sel:DWORD dst_unused:UNUSED_PAD src0_sel:DWORD src1_sel:WORD_1
	;; [unrolled: 1-line block ×3, first 2 shown]
	ds_write_b32 v97, v149 offset:2304
	ds_write2_b32 v106, v154, v169 offset0:48 offset1:144
	v_fma_f16 v174, v193, v168, -v174
	v_fmac_f16_e32 v175, v42, v168
	v_lshrrev_b32_e32 v42, 16, v187
	v_lshrrev_b32_e32 v154, 16, v194
	v_add_lshl_u32 v149, v161, v49, 2
	v_sub_f16_e32 v49, v187, v174
	v_lshrrev_b32_e32 v169, 16, v197
	v_sub_f16_e32 v161, v42, v175
	v_mul_f16_sdwa v174, v154, v163 dst_sel:DWORD dst_unused:UNUSED_PAD src0_sel:DWORD src1_sel:WORD_1
	v_mul_f16_sdwa v175, v194, v163 dst_sel:DWORD dst_unused:UNUSED_PAD src0_sel:DWORD src1_sel:WORD_1
	v_fma_f16 v176, v187, 2.0, -v49
	v_mul_f16_sdwa v177, v169, v162 dst_sel:DWORD dst_unused:UNUSED_PAD src0_sel:DWORD src1_sel:WORD_1
	v_fma_f16 v42, v42, 2.0, -v161
	v_fma_f16 v174, v194, v163, -v174
	v_fmac_f16_e32 v175, v154, v163
	v_fmac_f16_e32 v178, v169, v162
	v_fma_f16 v154, v197, v162, -v177
	v_pack_b32_f16 v42, v176, v42
	v_sub_f16_e32 v169, v195, v174
	v_lshrrev_b32_e32 v174, 16, v195
	v_lshrrev_b32_e32 v176, 16, v196
	v_sub_f16_e32 v154, v196, v154
	v_pack_b32_f16 v49, v49, v161
	v_lshrrev_b32_e32 v179, 16, v198
	v_sub_f16_e32 v175, v174, v175
	v_sub_f16_e32 v177, v176, v178
	v_fma_f16 v178, v196, 2.0, -v154
	ds_write_b32 v149, v42
	ds_write_b32 v149, v49 offset:2880
	v_fma_f16 v42, v174, 2.0, -v175
	v_fma_f16 v174, v176, 2.0, -v177
	v_mul_f16_sdwa v49, v179, v160 dst_sel:DWORD dst_unused:UNUSED_PAD src0_sel:DWORD src1_sel:WORD_1
	v_mul_f16_sdwa v176, v198, v160 dst_sel:DWORD dst_unused:UNUSED_PAD src0_sel:DWORD src1_sel:WORD_1
	v_fma_f16 v161, v195, 2.0, -v169
	v_mul_f16_sdwa v180, v201, v158 dst_sel:DWORD dst_unused:UNUSED_PAD src0_sel:DWORD src1_sel:WORD_1
	v_pack_b32_f16 v174, v178, v174
	v_lshrrev_b32_e32 v178, 16, v201
	v_fma_f16 v49, v198, v160, -v49
	v_fmac_f16_e32 v176, v179, v160
	v_lshrrev_b32_e32 v179, 16, v199
	v_pack_b32_f16 v42, v161, v42
	v_mul_f16_sdwa v181, v178, v158 dst_sel:DWORD dst_unused:UNUSED_PAD src0_sel:DWORD src1_sel:WORD_1
	v_add_nc_u32_e32 v161, 0x1600, v97
	v_sub_f16_e32 v49, v199, v49
	v_sub_f16_e32 v176, v179, v176
	v_fmac_f16_e32 v180, v178, v158
	v_fma_f16 v178, v201, v158, -v181
	v_lshrrev_b32_e32 v181, 16, v200
	ds_write2_b32 v161, v42, v174 offset0:80 offset1:176
	v_pack_b32_f16 v42, v154, v177
	v_pack_b32_f16 v154, v49, v176
	v_sub_f16_e32 v174, v200, v178
	v_sub_f16_e32 v177, v181, v180
	v_fma_f16 v176, v179, 2.0, -v176
	v_fma_f16 v49, v199, 2.0, -v49
	v_lshrrev_b32_e32 v178, 16, v202
	v_mul_f16_sdwa v183, v202, v159 dst_sel:DWORD dst_unused:UNUSED_PAD src0_sel:DWORD src1_sel:WORD_1
	v_fma_f16 v179, v200, 2.0, -v174
	v_fma_f16 v180, v181, 2.0, -v177
	ds_write2_b32 v88, v42, v154 offset1:96
	v_pack_b32_f16 v42, v49, v176
	v_lshrrev_b32_e32 v176, 16, v205
	v_mul_f16_sdwa v181, v178, v159 dst_sel:DWORD dst_unused:UNUSED_PAD src0_sel:DWORD src1_sel:WORD_1
	v_fmac_f16_e32 v183, v178, v159
	v_pack_b32_f16 v174, v174, v177
	v_lshrrev_b32_e32 v177, 16, v203
	v_lshrrev_b32_e32 v178, 16, v206
	v_pack_b32_f16 v49, v179, v180
	v_mul_f16_sdwa v179, v205, v156 dst_sel:DWORD dst_unused:UNUSED_PAD src0_sel:DWORD src1_sel:WORD_1
	v_mul_f16_sdwa v180, v176, v156 dst_sel:DWORD dst_unused:UNUSED_PAD src0_sel:DWORD src1_sel:WORD_1
	v_fma_f16 v154, v202, v159, -v181
	v_sub_f16_e32 v181, v177, v183
	v_mul_f16_sdwa v183, v178, v140 dst_sel:DWORD dst_unused:UNUSED_PAD src0_sel:DWORD src1_sel:WORD_1
	v_mul_f16_sdwa v184, v206, v140 dst_sel:DWORD dst_unused:UNUSED_PAD src0_sel:DWORD src1_sel:WORD_1
	v_fmac_f16_e32 v179, v176, v156
	v_fma_f16 v176, v205, v156, -v180
	v_lshrrev_b32_e32 v180, 16, v204
	v_fma_f16 v183, v206, v140, -v183
	v_fmac_f16_e32 v184, v178, v140
	v_lshrrev_b32_e32 v178, 16, v41
	v_sub_f16_e32 v154, v203, v154
	v_sub_f16_e32 v176, v204, v176
	;; [unrolled: 1-line block ×5, first 2 shown]
	v_fma_f16 v177, v177, 2.0, -v181
	v_fma_f16 v186, v203, 2.0, -v154
	;; [unrolled: 1-line block ×6, first 2 shown]
	v_pack_b32_f16 v154, v154, v181
	v_pack_b32_f16 v177, v186, v177
	;; [unrolled: 1-line block ×7, first 2 shown]
	ds_write2_b32 v76, v42, v49 offset0:144 offset1:240
	ds_write2_b32 v89, v174, v154 offset0:64 offset1:160
	;; [unrolled: 1-line block ×5, first 2 shown]
	s_waitcnt lgkmcnt(0)
	s_barrier
	buffer_gl0_inv
	s_clause 0x1
	global_load_dword v154, v[50:51], off offset:1624
	global_load_dword v169, v[50:51], off offset:2008
	v_add_co_u32 v41, vcc_lo, 0x1800, v52
	v_add_co_ci_u32_e32 v42, vcc_lo, 0, v185, vcc_lo
	s_clause 0x4
	global_load_dword v174, v[41:42], off offset:344
	global_load_dword v175, v[41:42], off offset:728
	global_load_dword v176, v[41:42], off offset:1112
	global_load_dword v177, v[41:42], off offset:1496
	global_load_dword v178, v[41:42], off offset:1880
	v_add_co_u32 v41, vcc_lo, 0x2000, v52
	v_add_co_ci_u32_e32 v42, vcc_lo, 0, v185, vcc_lo
	s_clause 0x4
	global_load_dword v179, v[41:42], off offset:216
	global_load_dword v180, v[41:42], off offset:600
	global_load_dword v181, v[41:42], off offset:984
	;; [unrolled: 8-line block ×3, first 2 shown]
	ds_read2_b32 v[41:42], v99 offset0:64 offset1:160
	ds_read2_b32 v[49:50], v76 offset1:96
	ds_read2_b32 v[51:52], v97 offset1:96
	s_waitcnt lgkmcnt(2)
	v_lshrrev_b32_e32 v193, 16, v42
	s_waitcnt lgkmcnt(1)
	v_lshrrev_b32_e32 v195, 16, v49
	;; [unrolled: 2-line block ×3, first 2 shown]
	s_waitcnt vmcnt(14)
	v_mul_f16_sdwa v194, v42, v154 dst_sel:DWORD dst_unused:UNUSED_PAD src0_sel:DWORD src1_sel:WORD_1
	s_waitcnt vmcnt(13)
	v_mul_f16_sdwa v198, v195, v169 dst_sel:DWORD dst_unused:UNUSED_PAD src0_sel:DWORD src1_sel:WORD_1
	v_mul_f16_sdwa v196, v49, v169 dst_sel:DWORD dst_unused:UNUSED_PAD src0_sel:DWORD src1_sel:WORD_1
	v_fmac_f16_e32 v194, v193, v154
	v_mul_f16_sdwa v193, v193, v154 dst_sel:DWORD dst_unused:UNUSED_PAD src0_sel:DWORD src1_sel:WORD_1
	v_fma_f16 v49, v49, v169, -v198
	v_fmac_f16_e32 v196, v195, v169
	v_lshrrev_b32_e32 v195, 16, v52
	s_waitcnt vmcnt(12)
	v_mul_f16_sdwa v217, v50, v174 dst_sel:DWORD dst_unused:UNUSED_PAD src0_sel:DWORD src1_sel:WORD_1
	v_fma_f16 v42, v42, v154, -v193
	v_sub_f16_e32 v193, v197, v194
	v_sub_f16_e32 v213, v52, v49
	;; [unrolled: 1-line block ×4, first 2 shown]
	v_fma_f16 v197, v197, 2.0, -v193
	v_fma_f16 v196, v52, 2.0, -v213
	v_fma_f16 v195, v195, 2.0, -v214
	v_pack_b32_f16 v49, v42, v193
	ds_read2_b32 v[193:194], v93 offset0:64 offset1:160
	v_fma_f16 v42, v51, 2.0, -v42
	ds_read2_b32 v[51:52], v105 offset0:64 offset1:160
	v_pack_b32_f16 v215, v196, v195
	ds_write_b32 v97, v49 offset:5760
	v_lshrrev_b32_e32 v49, 16, v50
	v_pack_b32_f16 v42, v42, v197
	ds_read2_b32 v[195:196], v82 offset0:128 offset1:224
	ds_read2_b32 v[197:198], v91 offset0:128 offset1:224
	;; [unrolled: 1-line block ×4, first 2 shown]
	ds_read2_b32 v[203:204], v104 offset1:96
	ds_read2_b32 v[205:206], v88 offset1:96
	ds_read2_b32 v[207:208], v79 offset0:64 offset1:160
	ds_read2_b32 v[209:210], v89 offset0:64 offset1:160
	;; [unrolled: 1-line block ×3, first 2 shown]
	v_mul_f16_sdwa v216, v49, v174 dst_sel:DWORD dst_unused:UNUSED_PAD src0_sel:DWORD src1_sel:WORD_1
	v_fmac_f16_e32 v217, v49, v174
	v_fma_f16 v216, v50, v174, -v216
	ds_read2_b32 v[49:50], v68 offset0:128 offset1:224
	ds_write2_b32 v97, v42, v215 offset1:96
	v_pack_b32_f16 v42, v213, v214
	s_waitcnt lgkmcnt(13)
	v_lshrrev_b32_e32 v218, 16, v193
	s_waitcnt vmcnt(11)
	v_mul_f16_sdwa v220, v193, v175 dst_sel:DWORD dst_unused:UNUSED_PAD src0_sel:DWORD src1_sel:WORD_1
	s_waitcnt lgkmcnt(12)
	v_lshrrev_b32_e32 v219, 16, v51
	v_sub_f16_e32 v216, v51, v216
	v_lshrrev_b32_e32 v215, 16, v194
	v_mul_f16_sdwa v221, v218, v175 dst_sel:DWORD dst_unused:UNUSED_PAD src0_sel:DWORD src1_sel:WORD_1
	v_fmac_f16_e32 v220, v218, v175
	v_lshrrev_b32_e32 v218, 16, v52
	v_sub_f16_e32 v217, v219, v217
	v_fma_f16 v51, v51, 2.0, -v216
	v_fma_f16 v193, v193, v175, -v221
	v_sub_f16_e32 v214, v218, v220
	v_pack_b32_f16 v213, v216, v217
	v_fma_f16 v217, v219, 2.0, -v217
	v_sub_f16_e32 v193, v52, v193
	v_fma_f16 v216, v218, 2.0, -v214
	ds_write2_b32 v76, v42, v213 offset1:96
	v_pack_b32_f16 v51, v51, v217
	v_fma_f16 v52, v52, 2.0, -v193
	s_waitcnt lgkmcnt(10)
	v_lshrrev_b32_e32 v213, 16, v197
	s_waitcnt vmcnt(10)
	v_mul_f16_sdwa v218, v215, v176 dst_sel:DWORD dst_unused:UNUSED_PAD src0_sel:DWORD src1_sel:WORD_1
	v_mul_f16_sdwa v42, v194, v176 dst_sel:DWORD dst_unused:UNUSED_PAD src0_sel:DWORD src1_sel:WORD_1
	v_pack_b32_f16 v193, v193, v214
	v_pack_b32_f16 v52, v52, v216
	v_lshrrev_b32_e32 v214, 16, v198
	v_fma_f16 v194, v194, v176, -v218
	v_fmac_f16_e32 v42, v215, v176
	v_lshrrev_b32_e32 v215, 16, v195
	ds_write2_b32 v105, v51, v52 offset0:64 offset1:160
	s_waitcnt vmcnt(9)
	v_mul_f16_sdwa v51, v197, v177 dst_sel:DWORD dst_unused:UNUSED_PAD src0_sel:DWORD src1_sel:WORD_1
	v_mul_f16_sdwa v52, v213, v177 dst_sel:DWORD dst_unused:UNUSED_PAD src0_sel:DWORD src1_sel:WORD_1
	v_sub_f16_e32 v194, v195, v194
	v_sub_f16_e32 v42, v215, v42
	v_fmac_f16_e32 v51, v213, v177
	v_fma_f16 v52, v197, v177, -v52
	v_lshrrev_b32_e32 v197, 16, v196
	v_pack_b32_f16 v213, v194, v42
	v_fma_f16 v42, v215, 2.0, -v42
	v_fma_f16 v194, v195, 2.0, -v194
	v_sub_f16_e32 v52, v196, v52
	v_sub_f16_e32 v51, v197, v51
	s_waitcnt vmcnt(8)
	v_mul_f16_sdwa v195, v214, v178 dst_sel:DWORD dst_unused:UNUSED_PAD src0_sel:DWORD src1_sel:WORD_1
	v_mul_f16_sdwa v215, v198, v178 dst_sel:DWORD dst_unused:UNUSED_PAD src0_sel:DWORD src1_sel:WORD_1
	v_pack_b32_f16 v42, v194, v42
	v_fma_f16 v196, v196, 2.0, -v52
	v_fma_f16 v197, v197, 2.0, -v51
	v_fma_f16 v194, v198, v178, -v195
	v_fmac_f16_e32 v215, v214, v178
	s_waitcnt lgkmcnt(10)
	v_lshrrev_b32_e32 v195, 16, v199
	ds_write2_b32 v93, v193, v213 offset0:64 offset1:160
	v_pack_b32_f16 v196, v196, v197
	s_waitcnt lgkmcnt(10)
	v_lshrrev_b32_e32 v193, 16, v201
	v_sub_f16_e32 v194, v199, v194
	v_sub_f16_e32 v197, v195, v215
	v_lshrrev_b32_e32 v198, 16, v202
	ds_write2_b32 v82, v42, v196 offset0:128 offset1:224
	v_pack_b32_f16 v42, v52, v51
	s_waitcnt vmcnt(7)
	v_mul_f16_sdwa v51, v193, v179 dst_sel:DWORD dst_unused:UNUSED_PAD src0_sel:DWORD src1_sel:WORD_1
	v_mul_f16_sdwa v52, v201, v179 dst_sel:DWORD dst_unused:UNUSED_PAD src0_sel:DWORD src1_sel:WORD_1
	v_pack_b32_f16 v196, v194, v197
	v_fma_f16 v195, v195, 2.0, -v197
	s_waitcnt vmcnt(6)
	v_mul_f16_sdwa v197, v198, v180 dst_sel:DWORD dst_unused:UNUSED_PAD src0_sel:DWORD src1_sel:WORD_1
	v_fma_f16 v51, v201, v179, -v51
	v_fmac_f16_e32 v52, v193, v179
	v_lshrrev_b32_e32 v193, 16, v200
	v_mul_f16_sdwa v201, v202, v180 dst_sel:DWORD dst_unused:UNUSED_PAD src0_sel:DWORD src1_sel:WORD_1
	v_fma_f16 v197, v202, v180, -v197
	v_sub_f16_e32 v51, v200, v51
	v_fma_f16 v194, v199, 2.0, -v194
	v_sub_f16_e32 v52, v193, v52
	v_fmac_f16_e32 v201, v198, v180
	s_waitcnt lgkmcnt(10)
	v_lshrrev_b32_e32 v198, 16, v203
	v_fma_f16 v199, v200, 2.0, -v51
	v_sub_f16_e32 v197, v203, v197
	v_fma_f16 v193, v193, 2.0, -v52
	s_waitcnt lgkmcnt(9)
	v_lshrrev_b32_e32 v200, 16, v205
	v_sub_f16_e32 v201, v198, v201
	v_pack_b32_f16 v194, v194, v195
	v_pack_b32_f16 v51, v51, v52
	;; [unrolled: 1-line block ×3, first 2 shown]
	s_waitcnt vmcnt(5)
	v_mul_f16_sdwa v52, v200, v181 dst_sel:DWORD dst_unused:UNUSED_PAD src0_sel:DWORD src1_sel:WORD_1
	v_pack_b32_f16 v195, v197, v201
	ds_write2_b32 v91, v42, v196 offset0:128 offset1:224
	ds_write2_b32 v103, v194, v193 offset0:64 offset1:160
	v_mul_f16_sdwa v42, v205, v181 dst_sel:DWORD dst_unused:UNUSED_PAD src0_sel:DWORD src1_sel:WORD_1
	v_fma_f16 v52, v205, v181, -v52
	ds_write2_b32 v71, v51, v195 offset0:64 offset1:160
	v_lshrrev_b32_e32 v51, 16, v206
	v_fma_f16 v193, v198, 2.0, -v201
	v_fmac_f16_e32 v42, v200, v181
	v_lshrrev_b32_e32 v194, 16, v204
	v_fma_f16 v197, v203, 2.0, -v197
	s_waitcnt vmcnt(4)
	v_mul_f16_sdwa v195, v51, v183 dst_sel:DWORD dst_unused:UNUSED_PAD src0_sel:DWORD src1_sel:WORD_1
	v_mul_f16_sdwa v196, v206, v183 dst_sel:DWORD dst_unused:UNUSED_PAD src0_sel:DWORD src1_sel:WORD_1
	v_sub_f16_e32 v52, v204, v52
	v_sub_f16_e32 v42, v194, v42
	v_pack_b32_f16 v193, v197, v193
	s_waitcnt lgkmcnt(10)
	v_lshrrev_b32_e32 v197, 16, v209
	v_fma_f16 v195, v206, v183, -v195
	v_fmac_f16_e32 v196, v51, v183
	v_lshrrev_b32_e32 v51, 16, v207
	v_fma_f16 v198, v204, 2.0, -v52
	v_fma_f16 v194, v194, 2.0, -v42
	s_waitcnt vmcnt(3)
	v_mul_f16_sdwa v199, v209, v184 dst_sel:DWORD dst_unused:UNUSED_PAD src0_sel:DWORD src1_sel:WORD_1
	v_mul_f16_sdwa v200, v197, v184 dst_sel:DWORD dst_unused:UNUSED_PAD src0_sel:DWORD src1_sel:WORD_1
	v_sub_f16_e32 v195, v207, v195
	v_sub_f16_e32 v196, v51, v196
	v_pack_b32_f16 v194, v198, v194
	v_fmac_f16_e32 v199, v197, v184
	v_fma_f16 v197, v209, v184, -v200
	v_lshrrev_b32_e32 v198, 16, v208
	v_pack_b32_f16 v42, v52, v42
	v_pack_b32_f16 v52, v195, v196
	ds_write2_b32 v104, v193, v194 offset1:96
	ds_write2_b32 v88, v42, v52 offset1:96
	v_fma_f16 v42, v51, 2.0, -v196
	v_sub_f16_e32 v51, v208, v197
	v_sub_f16_e32 v52, v198, v199
	v_lshrrev_b32_e32 v193, 16, v210
	v_fma_f16 v194, v207, 2.0, -v195
	s_waitcnt vmcnt(2)
	v_mul_f16_sdwa v195, v210, v185 dst_sel:DWORD dst_unused:UNUSED_PAD src0_sel:DWORD src1_sel:WORD_1
	v_fma_f16 v196, v208, 2.0, -v51
	v_fma_f16 v197, v198, 2.0, -v52
	v_mul_f16_sdwa v198, v193, v185 dst_sel:DWORD dst_unused:UNUSED_PAD src0_sel:DWORD src1_sel:WORD_1
	v_pack_b32_f16 v51, v51, v52
	s_waitcnt lgkmcnt(10)
	v_lshrrev_b32_e32 v52, 16, v49
	v_pack_b32_f16 v42, v194, v42
	v_pack_b32_f16 v194, v196, v197
	v_lshrrev_b32_e32 v197, 16, v50
	v_fma_f16 v196, v210, v185, -v198
	s_waitcnt vmcnt(1)
	v_mul_f16_sdwa v198, v49, v186 dst_sel:DWORD dst_unused:UNUSED_PAD src0_sel:DWORD src1_sel:WORD_1
	v_mul_f16_sdwa v199, v52, v186 dst_sel:DWORD dst_unused:UNUSED_PAD src0_sel:DWORD src1_sel:WORD_1
	s_waitcnt vmcnt(0)
	v_mul_f16_sdwa v201, v50, v187 dst_sel:DWORD dst_unused:UNUSED_PAD src0_sel:DWORD src1_sel:WORD_1
	v_mul_f16_sdwa v200, v197, v187 dst_sel:DWORD dst_unused:UNUSED_PAD src0_sel:DWORD src1_sel:WORD_1
	v_fmac_f16_e32 v195, v193, v185
	v_lshrrev_b32_e32 v193, 16, v211
	v_fmac_f16_e32 v198, v52, v186
	v_fma_f16 v49, v49, v186, -v199
	v_lshrrev_b32_e32 v52, 16, v212
	v_fma_f16 v50, v50, v187, -v200
	v_fmac_f16_e32 v201, v197, v187
	v_lshrrev_b32_e32 v197, 16, v41
	v_sub_f16_e32 v195, v193, v195
	v_sub_f16_e32 v196, v211, v196
	v_sub_f16_e32 v49, v212, v49
	v_sub_f16_e32 v198, v52, v198
	v_sub_f16_e32 v50, v41, v50
	v_sub_f16_e32 v200, v197, v201
	v_fma_f16 v193, v193, 2.0, -v195
	v_fma_f16 v199, v211, 2.0, -v196
	v_fma_f16 v201, v212, 2.0, -v49
	v_fma_f16 v52, v52, 2.0, -v198
	v_pack_b32_f16 v195, v196, v195
	v_fma_f16 v41, v41, 2.0, -v50
	v_fma_f16 v196, v197, 2.0, -v200
	v_pack_b32_f16 v193, v199, v193
	v_pack_b32_f16 v52, v201, v52
	;; [unrolled: 1-line block ×5, first 2 shown]
	ds_write2_b32 v79, v42, v194 offset0:64 offset1:160
	ds_write2_b32 v89, v51, v195 offset0:64 offset1:160
	;; [unrolled: 1-line block ×4, first 2 shown]
	ds_write_b32 v97, v41 offset:5376
	s_waitcnt lgkmcnt(0)
	s_barrier
	buffer_gl0_inv
	global_load_dword v193, v97, s[6:7]
	v_add_co_u32 v194, s0, s6, v97
	v_add_co_ci_u32_e64 v195, null, s7, 0, s0
	v_add_co_u32 v41, vcc_lo, 0x1800, v194
	v_add_co_ci_u32_e32 v42, vcc_lo, 0, v195, vcc_lo
	v_add_co_u32 v49, vcc_lo, 0x2000, v194
	v_add_co_ci_u32_e32 v50, vcc_lo, 0, v195, vcc_lo
	s_clause 0x6
	global_load_dword v196, v[41:42], off offset:1920
	global_load_dword v197, v[49:50], off offset:256
	;; [unrolled: 1-line block ×3, first 2 shown]
	global_load_dword v199, v43, s[6:7]
	global_load_dword v200, v97, s[6:7] offset:1152
	global_load_dword v201, v97, s[6:7] offset:1536
	global_load_dword v202, v97, s[6:7] offset:384
	v_add_co_u32 v51, vcc_lo, 0x800, v194
	v_add_co_ci_u32_e32 v52, vcc_lo, 0, v195, vcc_lo
	s_clause 0x4
	global_load_dword v203, v[51:52], off offset:256
	global_load_dword v204, v[51:52], off offset:1408
	;; [unrolled: 1-line block ×4, first 2 shown]
	global_load_dword v207, v48, s[6:7]
	v_add_co_u32 v51, vcc_lo, 0x1000, v194
	v_add_co_ci_u32_e32 v52, vcc_lo, 0, v195, vcc_lo
	s_clause 0x5
	global_load_dword v208, v[51:52], off offset:1664
	global_load_dword v209, v47, s[6:7]
	global_load_dword v210, v[51:52], off offset:896
	global_load_dword v211, v[41:42], off offset:768
	;; [unrolled: 1-line block ×4, first 2 shown]
	v_add_co_u32 v47, vcc_lo, 0x2800, v194
	v_add_co_ci_u32_e32 v48, vcc_lo, 0, v195, vcc_lo
	s_clause 0xa
	global_load_dword v214, v97, s[6:7] offset:1920
	global_load_dword v215, v97, s[6:7] offset:768
	global_load_dword v216, v[47:48], off offset:128
	global_load_dword v217, v45, s[6:7]
	global_load_dword v218, v46, s[6:7]
	global_load_dword v219, v[41:42], off offset:384
	global_load_dword v220, v[51:52], off offset:1280
	;; [unrolled: 1-line block ×3, first 2 shown]
	global_load_dword v222, v44, s[6:7]
	global_load_dword v223, v[49:50], off offset:1792
	global_load_dword v224, v[47:48], off offset:896
	ds_read2_b32 v[41:42], v97 offset1:96
	s_mul_hi_u32 s6, s8, 0x900
	s_mul_i32 s7, s8, 0x900
	s_waitcnt lgkmcnt(0)
	v_lshrrev_b32_e32 v43, 16, v41
	s_waitcnt vmcnt(29)
	v_mul_f16_sdwa v44, v41, v193 dst_sel:DWORD dst_unused:UNUSED_PAD src0_sel:DWORD src1_sel:WORD_1
	v_mul_f16_sdwa v45, v43, v193 dst_sel:DWORD dst_unused:UNUSED_PAD src0_sel:DWORD src1_sel:WORD_1
	v_fmac_f16_e32 v44, v43, v193
	v_fma_f16 v41, v41, v193, -v45
	v_pack_b32_f16 v41, v41, v44
	ds_write_b32 v97, v41
	ds_read2_b32 v[43:44], v91 offset0:128 offset1:224
	ds_read2_b32 v[45:46], v71 offset0:64 offset1:160
	ds_read2_b32 v[47:48], v88 offset1:96
	ds_read2_b32 v[51:52], v82 offset0:128 offset1:224
	s_waitcnt lgkmcnt(3)
	v_lshrrev_b32_e32 v41, 16, v44
	s_waitcnt vmcnt(28)
	v_mul_f16_sdwa v193, v44, v196 dst_sel:DWORD dst_unused:UNUSED_PAD src0_sel:DWORD src1_sel:WORD_1
	s_waitcnt lgkmcnt(2)
	v_lshrrev_b32_e32 v50, 16, v45
	s_waitcnt vmcnt(27)
	v_mul_f16_sdwa v194, v45, v197 dst_sel:DWORD dst_unused:UNUSED_PAD src0_sel:DWORD src1_sel:WORD_1
	s_waitcnt vmcnt(26)
	v_mul_f16_sdwa v226, v46, v198 dst_sel:DWORD dst_unused:UNUSED_PAD src0_sel:DWORD src1_sel:WORD_1
	v_mul_f16_sdwa v49, v41, v196 dst_sel:DWORD dst_unused:UNUSED_PAD src0_sel:DWORD src1_sel:WORD_1
	v_fmac_f16_e32 v193, v41, v196
	v_lshrrev_b32_e32 v41, 16, v46
	v_fmac_f16_e32 v194, v50, v197
	v_mul_f16_sdwa v195, v50, v197 dst_sel:DWORD dst_unused:UNUSED_PAD src0_sel:DWORD src1_sel:WORD_1
	v_fma_f16 v44, v44, v196, -v49
	s_waitcnt lgkmcnt(1)
	v_lshrrev_b32_e32 v196, 16, v47
	ds_read2_b32 v[49:50], v105 offset0:64 offset1:160
	v_mul_f16_sdwa v225, v41, v198 dst_sel:DWORD dst_unused:UNUSED_PAD src0_sel:DWORD src1_sel:WORD_1
	s_waitcnt vmcnt(25)
	v_mul_f16_sdwa v227, v47, v199 dst_sel:DWORD dst_unused:UNUSED_PAD src0_sel:DWORD src1_sel:WORD_1
	v_fma_f16 v45, v45, v197, -v195
	v_mul_f16_sdwa v228, v196, v199 dst_sel:DWORD dst_unused:UNUSED_PAD src0_sel:DWORD src1_sel:WORD_1
	v_fmac_f16_e32 v226, v41, v198
	v_fma_f16 v46, v46, v198, -v225
	v_fmac_f16_e32 v227, v196, v199
	v_pack_b32_f16 v41, v44, v193
	v_fma_f16 v47, v47, v199, -v228
	v_pack_b32_f16 v193, v45, v194
	ds_read2_b32 v[44:45], v103 offset0:64 offset1:160
	v_add_nc_u32_e32 v194, 0x1e00, v97
	v_pack_b32_f16 v46, v46, v226
	v_pack_b32_f16 v47, v47, v227
	v_add_nc_u32_e32 v195, 0x2200, v97
	ds_write2_b32 v194, v41, v193 offset0:96 offset1:192
	ds_write2_b32 v195, v46, v47 offset0:32 offset1:128
	s_waitcnt lgkmcnt(3)
	v_lshrrev_b32_e32 v41, 16, v50
	v_lshrrev_b32_e32 v197, 16, v51
	ds_read2_b32 v[46:47], v104 offset1:96
	ds_read2_b32 v[193:194], v79 offset0:64 offset1:160
	v_lshrrev_b32_e32 v195, 16, v42
	s_waitcnt vmcnt(24)
	v_mul_f16_sdwa v196, v50, v200 dst_sel:DWORD dst_unused:UNUSED_PAD src0_sel:DWORD src1_sel:WORD_1
	v_mul_f16_sdwa v198, v41, v200 dst_sel:DWORD dst_unused:UNUSED_PAD src0_sel:DWORD src1_sel:WORD_1
	s_waitcnt vmcnt(23)
	v_mul_f16_sdwa v199, v51, v201 dst_sel:DWORD dst_unused:UNUSED_PAD src0_sel:DWORD src1_sel:WORD_1
	v_mul_f16_sdwa v225, v197, v201 dst_sel:DWORD dst_unused:UNUSED_PAD src0_sel:DWORD src1_sel:WORD_1
	s_waitcnt vmcnt(22)
	v_mul_f16_sdwa v226, v195, v202 dst_sel:DWORD dst_unused:UNUSED_PAD src0_sel:DWORD src1_sel:WORD_1
	v_fmac_f16_e32 v196, v41, v200
	v_fma_f16 v41, v50, v200, -v198
	v_fmac_f16_e32 v199, v197, v201
	v_fma_f16 v50, v51, v201, -v225
	v_mul_f16_sdwa v200, v42, v202 dst_sel:DWORD dst_unused:UNUSED_PAD src0_sel:DWORD src1_sel:WORD_1
	s_waitcnt lgkmcnt(4)
	v_lshrrev_b32_e32 v51, 16, v44
	v_fma_f16 v201, v42, v202, -v226
	v_pack_b32_f16 v196, v41, v196
	v_pack_b32_f16 v50, v50, v199
	v_fmac_f16_e32 v200, v195, v202
	s_waitcnt vmcnt(21)
	v_mul_f16_sdwa v199, v44, v203 dst_sel:DWORD dst_unused:UNUSED_PAD src0_sel:DWORD src1_sel:WORD_1
	v_mul_f16_sdwa v195, v51, v203 dst_sel:DWORD dst_unused:UNUSED_PAD src0_sel:DWORD src1_sel:WORD_1
	ds_read2_b32 v[41:42], v98 offset0:128 offset1:224
	ds_write2_b32 v82, v196, v50 offset0:32 offset1:128
	s_waitcnt lgkmcnt(3)
	v_lshrrev_b32_e32 v197, 16, v47
	v_fmac_f16_e32 v199, v51, v203
	v_fma_f16 v202, v44, v203, -v195
	s_waitcnt lgkmcnt(2)
	v_lshrrev_b32_e32 v44, 16, v193
	ds_read2_b32 v[50:51], v99 offset0:64 offset1:160
	s_waitcnt vmcnt(20)
	v_mul_f16_sdwa v198, v47, v204 dst_sel:DWORD dst_unused:UNUSED_PAD src0_sel:DWORD src1_sel:WORD_1
	v_mul_f16_sdwa v203, v197, v204 dst_sel:DWORD dst_unused:UNUSED_PAD src0_sel:DWORD src1_sel:WORD_1
	s_waitcnt vmcnt(19)
	v_mul_f16_sdwa v225, v193, v205 dst_sel:DWORD dst_unused:UNUSED_PAD src0_sel:DWORD src1_sel:WORD_1
	v_mul_f16_sdwa v226, v44, v205 dst_sel:DWORD dst_unused:UNUSED_PAD src0_sel:DWORD src1_sel:WORD_1
	ds_read2_b32 v[195:196], v76 offset1:96
	v_lshrrev_b32_e32 v227, 16, v45
	v_fmac_f16_e32 v198, v197, v204
	v_fma_f16 v47, v47, v204, -v203
	v_fmac_f16_e32 v225, v44, v205
	v_fma_f16 v44, v193, v205, -v226
	s_waitcnt vmcnt(18)
	v_mul_f16_sdwa v193, v227, v206 dst_sel:DWORD dst_unused:UNUSED_PAD src0_sel:DWORD src1_sel:WORD_1
	v_mul_f16_sdwa v203, v45, v206 dst_sel:DWORD dst_unused:UNUSED_PAD src0_sel:DWORD src1_sel:WORD_1
	v_pack_b32_f16 v47, v47, v198
	s_waitcnt lgkmcnt(3)
	v_lshrrev_b32_e32 v197, 16, v41
	v_pack_b32_f16 v44, v44, v225
	s_waitcnt vmcnt(17)
	v_mul_f16_sdwa v204, v41, v207 dst_sel:DWORD dst_unused:UNUSED_PAD src0_sel:DWORD src1_sel:WORD_1
	v_fma_f16 v193, v45, v206, -v193
	v_fmac_f16_e32 v203, v227, v206
	v_mul_f16_sdwa v198, v197, v207 dst_sel:DWORD dst_unused:UNUSED_PAD src0_sel:DWORD src1_sel:WORD_1
	ds_write2_b32 v104, v47, v44 offset0:96 offset1:192
	ds_read2_b32 v[44:45], v93 offset0:64 offset1:160
	s_waitcnt lgkmcnt(3)
	v_lshrrev_b32_e32 v47, 16, v51
	v_fmac_f16_e32 v204, v197, v207
	v_fma_f16 v205, v41, v207, -v198
	s_waitcnt lgkmcnt(2)
	v_lshrrev_b32_e32 v41, 16, v195
	v_lshrrev_b32_e32 v206, 16, v42
	s_waitcnt vmcnt(16)
	v_mul_f16_sdwa v197, v51, v208 dst_sel:DWORD dst_unused:UNUSED_PAD src0_sel:DWORD src1_sel:WORD_1
	v_mul_f16_sdwa v198, v47, v208 dst_sel:DWORD dst_unused:UNUSED_PAD src0_sel:DWORD src1_sel:WORD_1
	s_waitcnt vmcnt(15)
	v_mul_f16_sdwa v207, v195, v209 dst_sel:DWORD dst_unused:UNUSED_PAD src0_sel:DWORD src1_sel:WORD_1
	v_mul_f16_sdwa v225, v41, v209 dst_sel:DWORD dst_unused:UNUSED_PAD src0_sel:DWORD src1_sel:WORD_1
	s_waitcnt vmcnt(14)
	v_mul_f16_sdwa v226, v206, v210 dst_sel:DWORD dst_unused:UNUSED_PAD src0_sel:DWORD src1_sel:WORD_1
	v_fmac_f16_e32 v197, v47, v208
	v_fma_f16 v47, v51, v208, -v198
	v_fmac_f16_e32 v207, v41, v209
	v_fma_f16 v51, v195, v209, -v225
	v_fma_f16 v195, v42, v210, -v226
	v_mul_f16_sdwa v208, v42, v210 dst_sel:DWORD dst_unused:UNUSED_PAD src0_sel:DWORD src1_sel:WORD_1
	v_pack_b32_f16 v47, v47, v197
	ds_read2_b32 v[41:42], v89 offset0:64 offset1:160
	ds_read2_b32 v[197:198], v68 offset0:128 offset1:224
	v_pack_b32_f16 v51, v51, v207
	s_waitcnt lgkmcnt(2)
	v_lshrrev_b32_e32 v207, 16, v44
	v_fmac_f16_e32 v208, v206, v210
	v_lshrrev_b32_e32 v206, 16, v45
	s_waitcnt vmcnt(13)
	v_mul_f16_sdwa v209, v44, v211 dst_sel:DWORD dst_unused:UNUSED_PAD src0_sel:DWORD src1_sel:WORD_1
	ds_write2_b32 v161, v47, v51 offset0:32 offset1:128
	v_mul_f16_sdwa v47, v207, v211 dst_sel:DWORD dst_unused:UNUSED_PAD src0_sel:DWORD src1_sel:WORD_1
	v_lshrrev_b32_e32 v51, 16, v48
	s_waitcnt vmcnt(12)
	v_mul_f16_sdwa v210, v206, v212 dst_sel:DWORD dst_unused:UNUSED_PAD src0_sel:DWORD src1_sel:WORD_1
	v_fmac_f16_e32 v209, v207, v211
	v_mul_f16_sdwa v207, v45, v212 dst_sel:DWORD dst_unused:UNUSED_PAD src0_sel:DWORD src1_sel:WORD_1
	v_fma_f16 v44, v44, v211, -v47
	s_waitcnt vmcnt(11)
	v_mul_f16_sdwa v47, v51, v213 dst_sel:DWORD dst_unused:UNUSED_PAD src0_sel:DWORD src1_sel:WORD_1
	v_fma_f16 v45, v45, v212, -v210
	v_mul_f16_sdwa v210, v48, v213 dst_sel:DWORD dst_unused:UNUSED_PAD src0_sel:DWORD src1_sel:WORD_1
	v_fmac_f16_e32 v207, v206, v212
	v_lshrrev_b32_e32 v206, 16, v49
	v_fma_f16 v47, v48, v213, -v47
	s_waitcnt lgkmcnt(2)
	v_lshrrev_b32_e32 v48, 16, v42
	v_fmac_f16_e32 v210, v51, v213
	s_waitcnt lgkmcnt(1)
	v_lshrrev_b32_e32 v51, 16, v197
	s_waitcnt vmcnt(8)
	v_mul_f16_sdwa v212, v42, v216 dst_sel:DWORD dst_unused:UNUSED_PAD src0_sel:DWORD src1_sel:WORD_1
	s_waitcnt vmcnt(7)
	v_mul_f16_sdwa v225, v197, v217 dst_sel:DWORD dst_unused:UNUSED_PAD src0_sel:DWORD src1_sel:WORD_1
	v_mul_f16_sdwa v213, v48, v216 dst_sel:DWORD dst_unused:UNUSED_PAD src0_sel:DWORD src1_sel:WORD_1
	;; [unrolled: 1-line block ×5, first 2 shown]
	v_fmac_f16_e32 v212, v48, v216
	v_fma_f16 v42, v42, v216, -v213
	v_fmac_f16_e32 v225, v51, v217
	v_fma_f16 v48, v197, v217, -v226
	v_lshrrev_b32_e32 v51, 16, v52
	v_fma_f16 v49, v49, v215, -v211
	v_fmac_f16_e32 v227, v206, v215
	v_pack_b32_f16 v42, v42, v212
	v_pack_b32_f16 v48, v48, v225
	;; [unrolled: 1-line block ×3, first 2 shown]
	v_mul_f16_sdwa v200, v51, v214 dst_sel:DWORD dst_unused:UNUSED_PAD src0_sel:DWORD src1_sel:WORD_1
	v_mul_f16_sdwa v201, v52, v214 dst_sel:DWORD dst_unused:UNUSED_PAD src0_sel:DWORD src1_sel:WORD_1
	v_pack_b32_f16 v49, v49, v227
	v_lshrrev_b32_e32 v206, 16, v46
	ds_write2_b32 v68, v42, v48 offset0:32 offset1:128
	ds_write2_b32 v97, v197, v49 offset0:96 offset1:192
	v_fma_f16 v42, v52, v214, -v200
	v_fmac_f16_e32 v201, v51, v214
	s_waitcnt vmcnt(6)
	v_mul_f16_sdwa v48, v206, v218 dst_sel:DWORD dst_unused:UNUSED_PAD src0_sel:DWORD src1_sel:WORD_1
	v_mul_f16_sdwa v49, v46, v218 dst_sel:DWORD dst_unused:UNUSED_PAD src0_sel:DWORD src1_sel:WORD_1
	v_pack_b32_f16 v52, v202, v199
	v_lshrrev_b32_e32 v51, 16, v194
	v_pack_b32_f16 v42, v42, v201
	v_fma_f16 v46, v46, v218, -v48
	v_fmac_f16_e32 v49, v206, v218
	s_waitcnt vmcnt(3)
	v_mul_f16_sdwa v197, v194, v221 dst_sel:DWORD dst_unused:UNUSED_PAD src0_sel:DWORD src1_sel:WORD_1
	v_mul_f16_sdwa v48, v51, v221 dst_sel:DWORD dst_unused:UNUSED_PAD src0_sel:DWORD src1_sel:WORD_1
	ds_write2_b32 v165, v42, v52 offset0:96 offset1:192
	v_lshrrev_b32_e32 v42, 16, v50
	v_pack_b32_f16 v46, v46, v49
	v_fmac_f16_e32 v197, v51, v221
	v_mul_f16_sdwa v51, v50, v220 dst_sel:DWORD dst_unused:UNUSED_PAD src0_sel:DWORD src1_sel:WORD_1
	v_pack_b32_f16 v52, v193, v203
	v_mul_f16_sdwa v49, v42, v220 dst_sel:DWORD dst_unused:UNUSED_PAD src0_sel:DWORD src1_sel:WORD_1
	v_fma_f16 v48, v194, v221, -v48
	v_pack_b32_f16 v193, v205, v204
	v_fmac_f16_e32 v51, v42, v220
	v_lshrrev_b32_e32 v42, 16, v43
	v_fma_f16 v49, v50, v220, -v49
	v_pack_b32_f16 v48, v48, v197
	ds_write2_b32 v107, v52, v46 offset0:32 offset1:128
	v_lshrrev_b32_e32 v46, 16, v196
	v_mul_f16_sdwa v52, v196, v219 dst_sel:DWORD dst_unused:UNUSED_PAD src0_sel:DWORD src1_sel:WORD_1
	v_pack_b32_f16 v49, v49, v51
	s_waitcnt vmcnt(2)
	v_mul_f16_sdwa v51, v42, v222 dst_sel:DWORD dst_unused:UNUSED_PAD src0_sel:DWORD src1_sel:WORD_1
	ds_write2_b32 v98, v48, v193 offset0:32 offset1:128
	v_mul_f16_sdwa v48, v46, v219 dst_sel:DWORD dst_unused:UNUSED_PAD src0_sel:DWORD src1_sel:WORD_1
	v_mul_f16_sdwa v193, v43, v222 dst_sel:DWORD dst_unused:UNUSED_PAD src0_sel:DWORD src1_sel:WORD_1
	v_fmac_f16_e32 v52, v46, v219
	v_lshrrev_b32_e32 v46, 16, v41
	v_fma_f16 v43, v43, v222, -v51
	v_lshrrev_b32_e32 v51, 16, v198
	v_fmac_f16_e32 v193, v42, v222
	v_pack_b32_f16 v42, v44, v209
	s_waitcnt vmcnt(1)
	v_mul_f16_sdwa v44, v46, v223 dst_sel:DWORD dst_unused:UNUSED_PAD src0_sel:DWORD src1_sel:WORD_1
	v_mul_f16_sdwa v194, v41, v223 dst_sel:DWORD dst_unused:UNUSED_PAD src0_sel:DWORD src1_sel:WORD_1
	v_pack_b32_f16 v50, v195, v208
	v_fma_f16 v48, v196, v219, -v48
	s_waitcnt vmcnt(0)
	v_mul_f16_sdwa v195, v51, v224 dst_sel:DWORD dst_unused:UNUSED_PAD src0_sel:DWORD src1_sel:WORD_1
	v_mul_f16_sdwa v196, v198, v224 dst_sel:DWORD dst_unused:UNUSED_PAD src0_sel:DWORD src1_sel:WORD_1
	v_fma_f16 v41, v41, v223, -v44
	v_fmac_f16_e32 v194, v46, v223
	v_pack_b32_f16 v48, v48, v52
	v_fma_f16 v44, v198, v224, -v195
	v_fmac_f16_e32 v196, v51, v224
	v_pack_b32_f16 v45, v45, v207
	v_pack_b32_f16 v43, v43, v193
	;; [unrolled: 1-line block ×5, first 2 shown]
	ds_write2_b32 v106, v50, v49 offset0:96 offset1:192
	ds_write2_b32 v76, v48, v42 offset0:96 offset1:192
	;; [unrolled: 1-line block ×4, first 2 shown]
	ds_write_b32 v97, v44 offset:11136
	s_waitcnt lgkmcnt(0)
	s_barrier
	buffer_gl0_inv
	ds_read2_b32 v[41:42], v88 offset1:96
	ds_read2_b32 v[193:194], v103 offset0:64 offset1:160
	ds_read2_b32 v[195:196], v93 offset0:64 offset1:160
	ds_read2_b32 v[197:198], v98 offset0:128 offset1:224
	ds_read2_b32 v[199:200], v97 offset1:96
	s_waitcnt lgkmcnt(3)
	v_add_f16_e32 v43, v193, v41
	s_waitcnt lgkmcnt(2)
	v_sub_f16_e32 v44, v195, v41
	s_waitcnt lgkmcnt(1)
	v_sub_f16_e32 v45, v197, v193
	v_sub_f16_sdwa v216, v197, v195 dst_sel:DWORD dst_unused:UNUSED_PAD src0_sel:WORD_1 src1_sel:WORD_1
	v_add_f16_sdwa v202, v197, v195 dst_sel:DWORD dst_unused:UNUSED_PAD src0_sel:WORD_1 src1_sel:WORD_1
	s_waitcnt lgkmcnt(0)
	v_fma_f16 v215, -0.5, v43, v199
	v_lshrrev_b32_e32 v218, 16, v199
	v_add_f16_e32 v201, v45, v44
	ds_read2_b32 v[45:46], v91 offset0:128 offset1:224
	ds_read2_b32 v[47:48], v89 offset0:64 offset1:160
	;; [unrolled: 1-line block ×4, first 2 shown]
	ds_read2_b32 v[51:52], v104 offset1:96
	v_add_f16_sdwa v203, v193, v41 dst_sel:DWORD dst_unused:UNUSED_PAD src0_sel:WORD_1 src1_sel:WORD_1
	v_fmamk_f16 v217, v216, 0x3b9c, v215
	v_sub_f16_sdwa v219, v193, v41 dst_sel:DWORD dst_unused:UNUSED_PAD src0_sel:WORD_1 src1_sel:WORD_1
	v_fmac_f16_e32 v215, 0xbb9c, v216
	v_fma_f16 v220, -0.5, v202, v218
	v_fmac_f16_e32 v218, -0.5, v203
	v_sub_f16_sdwa v202, v197, v193 dst_sel:DWORD dst_unused:UNUSED_PAD src0_sel:WORD_1 src1_sel:WORD_1
	v_fmac_f16_e32 v217, 0xb8b4, v219
	v_fmac_f16_e32 v215, 0x38b4, v219
	v_sub_f16_sdwa v203, v195, v41 dst_sel:DWORD dst_unused:UNUSED_PAD src0_sel:WORD_1 src1_sel:WORD_1
	v_sub_f16_e32 v221, v197, v195
	v_sub_f16_e32 v223, v193, v41
	v_fmac_f16_e32 v217, 0x34f2, v201
	v_fmac_f16_e32 v215, 0x34f2, v201
	v_add_f16_e32 v201, v202, v203
	v_fmamk_f16 v222, v221, 0xbb9c, v218
	v_fmac_f16_e32 v218, 0x3b9c, v221
	s_waitcnt lgkmcnt(2)
	v_add_f16_sdwa v202, v50, v46 dst_sel:DWORD dst_unused:UNUSED_PAD src0_sel:WORD_1 src1_sel:WORD_1
	s_waitcnt lgkmcnt(1)
	v_lshrrev_b32_e32 v203, 16, v44
	s_waitcnt lgkmcnt(0)
	v_add_f16_sdwa v204, v52, v48 dst_sel:DWORD dst_unused:UNUSED_PAD src0_sel:WORD_1 src1_sel:WORD_1
	v_add_f16_e32 v206, v52, v48
	v_sub_f16_e32 v225, v50, v46
	v_sub_f16_sdwa v226, v50, v46 dst_sel:DWORD dst_unused:UNUSED_PAD src0_sel:WORD_1 src1_sel:WORD_1
	v_fma_f16 v224, -0.5, v202, v203
	v_fmac_f16_e32 v203, -0.5, v204
	v_fma_f16 v202, -0.5, v206, v44
	v_fmac_f16_e32 v222, 0x38b4, v223
	v_fmac_f16_e32 v218, 0xb8b4, v223
	v_sub_f16_e32 v205, v46, v48
	v_sub_f16_e32 v207, v50, v52
	v_sub_f16_sdwa v204, v50, v52 dst_sel:DWORD dst_unused:UNUSED_PAD src0_sel:WORD_1 src1_sel:WORD_1
	v_sub_f16_sdwa v206, v46, v48 dst_sel:DWORD dst_unused:UNUSED_PAD src0_sel:WORD_1 src1_sel:WORD_1
	v_fmamk_f16 v208, v225, 0xbb9c, v203
	v_fmac_f16_e32 v203, 0x3b9c, v225
	v_sub_f16_e32 v211, v52, v48
	v_fmamk_f16 v209, v226, 0x3b9c, v202
	v_fmac_f16_e32 v202, 0xbb9c, v226
	v_sub_f16_sdwa v227, v52, v48 dst_sel:DWORD dst_unused:UNUSED_PAD src0_sel:WORD_1 src1_sel:WORD_1
	v_add_f16_e32 v204, v204, v206
	v_fmac_f16_e32 v203, 0xb8b4, v211
	v_add_f16_e32 v205, v207, v205
	v_fmac_f16_e32 v208, 0x38b4, v211
	v_fmac_f16_e32 v209, 0xb8b4, v227
	;; [unrolled: 1-line block ×5, first 2 shown]
	v_add_f16_e32 v201, v50, v46
	v_fmac_f16_e32 v203, 0x34f2, v204
	v_fmac_f16_e32 v208, 0x34f2, v204
	;; [unrolled: 1-line block ×4, first 2 shown]
	v_sub_f16_sdwa v204, v52, v50 dst_sel:DWORD dst_unused:UNUSED_PAD src0_sel:WORD_1 src1_sel:WORD_1
	v_sub_f16_sdwa v205, v48, v46 dst_sel:DWORD dst_unused:UNUSED_PAD src0_sel:WORD_1 src1_sel:WORD_1
	v_fma_f16 v232, -0.5, v201, v44
	v_sub_f16_e32 v206, v48, v46
	v_sub_f16_e32 v207, v52, v50
	v_fmamk_f16 v201, v211, 0x3b9c, v224
	v_add_f16_e32 v233, v204, v205
	v_fmamk_f16 v204, v227, 0xbb9c, v232
	v_mul_f16_e32 v230, 0xbb9c, v208
	v_add_f16_e32 v234, v207, v206
	v_add_f16_e32 v207, v197, v195
	v_mul_f16_e32 v231, 0x34f2, v208
	v_fmac_f16_e32 v201, 0x38b4, v225
	v_fmac_f16_e32 v204, 0xb8b4, v226
	;; [unrolled: 1-line block ×3, first 2 shown]
	v_fma_f16 v236, -0.5, v207, v199
	v_fmac_f16_e32 v231, 0x3b9c, v209
	v_sub_f16_e32 v205, v41, v195
	v_sub_f16_e32 v208, v193, v197
	v_fmac_f16_e32 v201, 0x34f2, v233
	v_sub_f16_sdwa v206, v193, v197 dst_sel:DWORD dst_unused:UNUSED_PAD src0_sel:WORD_1 src1_sel:WORD_1
	v_sub_f16_sdwa v209, v41, v195 dst_sel:DWORD dst_unused:UNUSED_PAD src0_sel:WORD_1 src1_sel:WORD_1
	v_fmac_f16_e32 v204, 0x34f2, v234
	v_pk_add_f16 v193, v199, v193
	v_fmamk_f16 v199, v219, 0xbb9c, v236
	v_fmamk_f16 v239, v223, 0x3b9c, v220
	v_mul_f16_e32 v235, 0xb8b4, v201
	v_add_f16_e32 v237, v208, v205
	v_add_f16_e32 v238, v206, v209
	v_pk_add_f16 v44, v44, v52
	v_mul_f16_e32 v52, 0x38b4, v204
	v_pk_add_f16 v193, v193, v197
	v_fmac_f16_e32 v199, 0xb8b4, v216
	v_fmac_f16_e32 v239, 0x38b4, v221
	;; [unrolled: 1-line block ×4, first 2 shown]
	v_pk_add_f16 v44, v44, v50
	v_fmac_f16_e32 v52, 0x3a79, v201
	v_pk_add_f16 v50, v193, v195
	v_fmac_f16_e32 v199, 0x34f2, v237
	v_fmac_f16_e32 v239, 0x34f2, v238
	;; [unrolled: 1-line block ×4, first 2 shown]
	v_pk_add_f16 v44, v44, v46
	v_pk_add_f16 v41, v50, v41
	v_add_f16_e32 v50, v199, v235
	v_add_f16_e32 v193, v239, v52
	v_fmac_f16_e32 v236, 0x3b9c, v219
	v_fmac_f16_e32 v220, 0xbb9c, v223
	;; [unrolled: 1-line block ×4, first 2 shown]
	v_mul_f16_e32 v228, 0xbb9c, v203
	v_mul_f16_e32 v229, 0xb4f2, v203
	v_add_f16_e32 v210, v217, v230
	v_add_f16_e32 v46, v222, v231
	v_pk_add_f16 v44, v44, v48
	v_pack_b32_f16 v204, v50, v193
	v_fmac_f16_e32 v236, 0x38b4, v216
	v_fmac_f16_e32 v220, 0xb8b4, v221
	;; [unrolled: 1-line block ×3, first 2 shown]
	v_mul_f16_e32 v48, 0xb8b4, v224
	v_mul_f16_e32 v50, 0xba79, v224
	v_fmac_f16_e32 v228, 0xb4f2, v202
	v_fmac_f16_e32 v229, 0x3b9c, v202
	v_pack_b32_f16 v201, v210, v46
	v_sub_f16_e32 v46, v217, v230
	v_sub_f16_e32 v193, v222, v231
	v_fmac_f16_e32 v236, 0x34f2, v237
	v_fmac_f16_e32 v220, 0x34f2, v238
	;; [unrolled: 1-line block ×4, first 2 shown]
	v_add_f16_e32 v202, v215, v228
	v_add_f16_e32 v203, v218, v229
	v_sub_f16_e32 v195, v199, v235
	v_sub_f16_e32 v52, v239, v52
	v_pack_b32_f16 v216, v46, v193
	v_add_f16_e32 v46, v236, v48
	v_add_f16_e32 v193, v220, v50
	v_sub_f16_e32 v197, v215, v228
	v_sub_f16_e32 v48, v236, v48
	;; [unrolled: 1-line block ×4, first 2 shown]
	v_pack_b32_f16 v202, v202, v203
	v_pk_add_f16 v203, v41, v44
	v_pk_add_f16 v218, v41, v44 neg_lo:[0,1] neg_hi:[0,1]
	v_pk_add_f16 v41, v200, v194
	v_pack_b32_f16 v215, v195, v52
	v_pack_b32_f16 v217, v46, v193
	;; [unrolled: 1-line block ×4, first 2 shown]
	ds_read2_b32 v[205:206], v82 offset0:128 offset1:224
	ds_read2_b32 v[207:208], v79 offset0:64 offset1:160
	ds_read2_b32 v[209:210], v76 offset1:96
	ds_read2_b32 v[211:212], v71 offset0:64 offset1:160
	ds_read2_b32 v[213:214], v68 offset0:128 offset1:224
	s_waitcnt lgkmcnt(0)
	s_barrier
	buffer_gl0_inv
	ds_write2_b64 v110, v[203:204], v[201:202] offset1:1
	ds_write2_b64 v110, v[217:218], v[215:216] offset0:2 offset1:3
	ds_write_b64 v110, v[219:220] offset:32
	v_pk_add_f16 v41, v41, v198
	v_add_f16_e32 v44, v198, v196
	v_sub_f16_sdwa v46, v198, v196 dst_sel:DWORD dst_unused:UNUSED_PAD src0_sel:WORD_1 src1_sel:WORD_1
	v_sub_f16_e32 v48, v194, v198
	v_sub_f16_e32 v50, v198, v194
	v_add_f16_sdwa v52, v198, v196 dst_sel:DWORD dst_unused:UNUSED_PAD src0_sel:WORD_1 src1_sel:WORD_1
	v_sub_f16_e32 v110, v198, v196
	v_sub_f16_sdwa v193, v194, v198 dst_sel:DWORD dst_unused:UNUSED_PAD src0_sel:WORD_1 src1_sel:WORD_1
	v_sub_f16_sdwa v195, v198, v194 dst_sel:DWORD dst_unused:UNUSED_PAD src0_sel:WORD_1 src1_sel:WORD_1
	v_add_f16_e32 v198, v194, v42
	v_sub_f16_sdwa v197, v194, v42 dst_sel:DWORD dst_unused:UNUSED_PAD src0_sel:WORD_1 src1_sel:WORD_1
	v_pk_add_f16 v41, v41, v196
	v_sub_f16_e32 v202, v196, v42
	v_sub_f16_e32 v199, v194, v42
	v_fma_f16 v198, -0.5, v198, v200
	v_add_f16_sdwa v194, v194, v42 dst_sel:DWORD dst_unused:UNUSED_PAD src0_sel:WORD_1 src1_sel:WORD_1
	v_sub_f16_e32 v201, v42, v196
	v_sub_f16_sdwa v203, v42, v196 dst_sel:DWORD dst_unused:UNUSED_PAD src0_sel:WORD_1 src1_sel:WORD_1
	v_lshrrev_b32_e32 v204, 16, v200
	v_fmamk_f16 v216, v46, 0x3b9c, v198
	v_fmac_f16_e32 v198, 0xbb9c, v46
	v_sub_f16_sdwa v196, v196, v42 dst_sel:DWORD dst_unused:UNUSED_PAD src0_sel:WORD_1 src1_sel:WORD_1
	v_pk_add_f16 v215, v41, v42
	v_add_f16_e32 v41, v50, v202
	v_fmac_f16_e32 v216, 0xb8b4, v197
	v_fmac_f16_e32 v198, 0x38b4, v197
	v_fma_f16 v52, -0.5, v52, v204
	v_fmac_f16_e32 v204, -0.5, v194
	v_add_f16_sdwa v42, v209, v211 dst_sel:DWORD dst_unused:UNUSED_PAD src0_sel:WORD_1 src1_sel:WORD_1
	v_fmac_f16_e32 v216, 0x34f2, v41
	v_fmac_f16_e32 v198, 0x34f2, v41
	v_add_f16_e32 v41, v195, v196
	v_lshrrev_b32_e32 v194, 16, v205
	v_add_f16_sdwa v195, v207, v213 dst_sel:DWORD dst_unused:UNUSED_PAD src0_sel:WORD_1 src1_sel:WORD_1
	v_fma_f16 v44, -0.5, v44, v200
	v_add_f16_e32 v200, v207, v213
	v_fmamk_f16 v50, v110, 0xbb9c, v204
	v_fma_f16 v217, -0.5, v42, v194
	v_fmac_f16_e32 v194, -0.5, v195
	v_sub_f16_e32 v195, v209, v211
	v_fmac_f16_e32 v204, 0x3b9c, v110
	v_fma_f16 v42, -0.5, v200, v205
	v_sub_f16_sdwa v200, v209, v211 dst_sel:DWORD dst_unused:UNUSED_PAD src0_sel:WORD_1 src1_sel:WORD_1
	v_sub_f16_sdwa v218, v209, v207 dst_sel:DWORD dst_unused:UNUSED_PAD src0_sel:WORD_1 src1_sel:WORD_1
	;; [unrolled: 1-line block ×3, first 2 shown]
	v_fmamk_f16 v220, v195, 0xbb9c, v194
	v_fmac_f16_e32 v194, 0x3b9c, v195
	v_sub_f16_e32 v221, v207, v213
	v_fmac_f16_e32 v50, 0x38b4, v199
	v_fmac_f16_e32 v204, 0xb8b4, v199
	v_sub_f16_e32 v196, v211, v213
	v_sub_f16_e32 v202, v209, v207
	v_fmamk_f16 v222, v200, 0x3b9c, v42
	v_fmac_f16_e32 v42, 0xbb9c, v200
	v_sub_f16_sdwa v223, v207, v213 dst_sel:DWORD dst_unused:UNUSED_PAD src0_sel:WORD_1 src1_sel:WORD_1
	v_add_f16_e32 v218, v218, v219
	v_fmac_f16_e32 v194, 0xb8b4, v221
	v_fmac_f16_e32 v220, 0x38b4, v221
	;; [unrolled: 1-line block ×3, first 2 shown]
	v_add_f16_e32 v196, v202, v196
	v_fmac_f16_e32 v42, 0x38b4, v223
	v_fmac_f16_e32 v194, 0x34f2, v218
	;; [unrolled: 1-line block ×5, first 2 shown]
	v_add_f16_e32 v41, v209, v211
	v_fmac_f16_e32 v42, 0x34f2, v196
	v_mul_f16_e32 v202, 0xbb9c, v194
	v_fmac_f16_e32 v222, 0x34f2, v196
	v_mul_f16_e32 v196, 0xb4f2, v194
	v_mul_f16_e32 v218, 0xbb9c, v220
	;; [unrolled: 1-line block ×3, first 2 shown]
	v_fma_f16 v220, -0.5, v41, v205
	v_fmac_f16_e32 v202, 0xb4f2, v42
	v_fmac_f16_e32 v196, 0x3b9c, v42
	v_fmac_f16_e32 v218, 0x34f2, v222
	v_fmac_f16_e32 v219, 0x3b9c, v222
	v_sub_f16_e32 v42, v213, v211
	v_sub_f16_e32 v41, v207, v209
	v_sub_f16_sdwa v194, v207, v209 dst_sel:DWORD dst_unused:UNUSED_PAD src0_sel:WORD_1 src1_sel:WORD_1
	v_sub_f16_sdwa v222, v213, v211 dst_sel:DWORD dst_unused:UNUSED_PAD src0_sel:WORD_1 src1_sel:WORD_1
	v_fmamk_f16 v224, v221, 0x3b9c, v217
	v_fmamk_f16 v225, v223, 0xbb9c, v220
	v_add_f16_e32 v227, v41, v42
	v_add_f16_e32 v48, v48, v201
	;; [unrolled: 1-line block ×3, first 2 shown]
	v_fmac_f16_e32 v224, 0x38b4, v195
	v_fmac_f16_e32 v225, 0xb8b4, v200
	v_add_f16_e32 v201, v193, v203
	v_fmamk_f16 v203, v197, 0xbb9c, v44
	v_fmamk_f16 v228, v199, 0x3b9c, v52
	v_fmac_f16_e32 v224, 0x34f2, v222
	v_fmac_f16_e32 v225, 0x34f2, v227
	v_pk_add_f16 v42, v205, v207
	v_fmac_f16_e32 v217, 0xbb9c, v221
	v_fmac_f16_e32 v203, 0xb8b4, v46
	v_mul_f16_e32 v205, 0xb8b4, v224
	v_mul_f16_e32 v207, 0x38b4, v225
	v_fmac_f16_e32 v228, 0x38b4, v110
	v_pk_add_f16 v42, v42, v209
	v_fmac_f16_e32 v220, 0x3b9c, v223
	v_fmac_f16_e32 v217, 0xb8b4, v195
	;; [unrolled: 1-line block ×6, first 2 shown]
	v_pk_add_f16 v42, v42, v211
	v_fmac_f16_e32 v44, 0x3b9c, v197
	v_fmac_f16_e32 v52, 0xbb9c, v199
	v_fmac_f16_e32 v220, 0x38b4, v200
	v_fmac_f16_e32 v217, 0x34f2, v222
	v_add_f16_e32 v226, v198, v202
	v_add_f16_e32 v41, v204, v196
	;; [unrolled: 1-line block ×6, first 2 shown]
	v_pk_add_f16 v213, v42, v213
	v_fmac_f16_e32 v44, 0x38b4, v46
	v_fmac_f16_e32 v52, 0xb8b4, v110
	;; [unrolled: 1-line block ×3, first 2 shown]
	v_mul_f16_e32 v46, 0xb8b4, v217
	v_mul_f16_e32 v110, 0xba79, v217
	v_pack_b32_f16 v42, v226, v41
	v_pack_b32_f16 v41, v193, v194
	;; [unrolled: 1-line block ×3, first 2 shown]
	v_pk_add_f16 v193, v215, v213
	v_sub_f16_e32 v195, v216, v218
	v_sub_f16_e32 v50, v50, v219
	v_fmac_f16_e32 v44, 0x34f2, v48
	v_fmac_f16_e32 v52, 0x34f2, v201
	;; [unrolled: 1-line block ×4, first 2 shown]
	ds_write2_b64 v111, v[193:194], v[41:42] offset1:1
	v_pack_b32_f16 v42, v195, v50
	v_add_f16_e32 v200, v51, v47
	v_add_f16_e32 v48, v44, v46
	;; [unrolled: 1-line block ×3, first 2 shown]
	v_sub_f16_e32 v44, v44, v46
	v_sub_f16_e32 v46, v52, v110
	v_pk_add_f16 v110, v43, v51
	v_sub_f16_e32 v203, v203, v205
	v_sub_f16_e32 v197, v228, v207
	;; [unrolled: 1-line block ×4, first 2 shown]
	v_pack_b32_f16 v193, v48, v50
	v_pack_b32_f16 v196, v44, v46
	v_pk_add_f16 v44, v110, v49
	v_sub_f16_sdwa v48, v49, v45 dst_sel:DWORD dst_unused:UNUSED_PAD src0_sel:WORD_1 src1_sel:WORD_1
	v_fma_f16 v200, -0.5, v200, v43
	v_pack_b32_f16 v41, v203, v197
	v_pack_b32_f16 v195, v195, v52
	v_add_f16_e32 v46, v49, v45
	v_sub_f16_e32 v52, v49, v51
	v_sub_f16_sdwa v199, v51, v47 dst_sel:DWORD dst_unused:UNUSED_PAD src0_sel:WORD_1 src1_sel:WORD_1
	v_pk_add_f16 v44, v44, v45
	v_pk_add_f16 v203, v206, v208
	v_sub_f16_e32 v204, v45, v47
	v_fmamk_f16 v222, v48, 0x3b9c, v200
	v_fmac_f16_e32 v200, 0xbb9c, v48
	v_pk_add_f16 v194, v215, v213 neg_lo:[0,1] neg_hi:[0,1]
	v_sub_f16_e32 v50, v51, v49
	v_add_f16_sdwa v110, v49, v45 dst_sel:DWORD dst_unused:UNUSED_PAD src0_sel:WORD_1 src1_sel:WORD_1
	v_sub_f16_e32 v197, v49, v45
	v_sub_f16_sdwa v198, v51, v49 dst_sel:DWORD dst_unused:UNUSED_PAD src0_sel:WORD_1 src1_sel:WORD_1
	v_sub_f16_sdwa v49, v49, v51 dst_sel:DWORD dst_unused:UNUSED_PAD src0_sel:WORD_1 src1_sel:WORD_1
	v_sub_f16_e32 v201, v51, v47
	v_add_f16_sdwa v51, v51, v47 dst_sel:DWORD dst_unused:UNUSED_PAD src0_sel:WORD_1 src1_sel:WORD_1
	v_sub_f16_e32 v202, v47, v45
	v_sub_f16_sdwa v205, v47, v45 dst_sel:DWORD dst_unused:UNUSED_PAD src0_sel:WORD_1 src1_sel:WORD_1
	v_sub_f16_sdwa v45, v45, v47 dst_sel:DWORD dst_unused:UNUSED_PAD src0_sel:WORD_1 src1_sel:WORD_1
	v_pk_add_f16 v207, v44, v47
	v_pk_add_f16 v44, v203, v210
	v_add_f16_e32 v47, v210, v212
	v_sub_f16_sdwa v203, v210, v212 dst_sel:DWORD dst_unused:UNUSED_PAD src0_sel:WORD_1 src1_sel:WORD_1
	v_sub_f16_e32 v209, v208, v210
	v_sub_f16_e32 v211, v210, v208
	v_add_f16_sdwa v213, v210, v212 dst_sel:DWORD dst_unused:UNUSED_PAD src0_sel:WORD_1 src1_sel:WORD_1
	v_sub_f16_e32 v215, v210, v212
	v_sub_f16_sdwa v216, v208, v210 dst_sel:DWORD dst_unused:UNUSED_PAD src0_sel:WORD_1 src1_sel:WORD_1
	v_sub_f16_sdwa v210, v210, v208 dst_sel:DWORD dst_unused:UNUSED_PAD src0_sel:WORD_1 src1_sel:WORD_1
	;; [unrolled: 1-line block ×3, first 2 shown]
	v_add_f16_e32 v218, v208, v214
	v_sub_f16_e32 v219, v208, v214
	v_add_f16_sdwa v208, v208, v214 dst_sel:DWORD dst_unused:UNUSED_PAD src0_sel:WORD_1 src1_sel:WORD_1
	v_add_f16_e32 v52, v52, v204
	v_fmac_f16_e32 v222, 0xb8b4, v199
	v_fmac_f16_e32 v200, 0x38b4, v199
	v_lshrrev_b32_e32 v204, 16, v43
	v_fma_f16 v224, -0.5, v46, v43
	v_lshrrev_b32_e32 v43, 16, v206
	v_fmac_f16_e32 v222, 0x34f2, v52
	v_fmac_f16_e32 v200, 0x34f2, v52
	v_fma_f16 v52, -0.5, v110, v204
	v_fmac_f16_e32 v204, -0.5, v51
	v_fma_f16 v51, -0.5, v213, v43
	v_fmac_f16_e32 v43, -0.5, v208
	v_pk_add_f16 v44, v44, v212
	v_sub_f16_e32 v220, v214, v212
	v_sub_f16_e32 v221, v212, v214
	v_sub_f16_sdwa v223, v214, v212 dst_sel:DWORD dst_unused:UNUSED_PAD src0_sel:WORD_1 src1_sel:WORD_1
	v_sub_f16_sdwa v212, v212, v214 dst_sel:DWORD dst_unused:UNUSED_PAD src0_sel:WORD_1 src1_sel:WORD_1
	v_fmamk_f16 v110, v215, 0xbb9c, v43
	v_fmac_f16_e32 v43, 0x3b9c, v215
	v_add_f16_e32 v45, v49, v45
	v_fma_f16 v46, -0.5, v218, v206
	v_fmamk_f16 v49, v197, 0xbb9c, v204
	v_fmac_f16_e32 v204, 0x3b9c, v197
	v_add_f16_e32 v208, v210, v212
	v_fmac_f16_e32 v43, 0xb8b4, v219
	v_fma_f16 v47, -0.5, v47, v206
	v_fmamk_f16 v206, v203, 0x3b9c, v46
	v_fmac_f16_e32 v46, 0xbb9c, v203
	v_fmac_f16_e32 v49, 0x38b4, v201
	;; [unrolled: 1-line block ×5, first 2 shown]
	v_add_f16_e32 v210, v211, v221
	v_fmac_f16_e32 v46, 0x38b4, v217
	v_fmac_f16_e32 v49, 0x34f2, v45
	;; [unrolled: 1-line block ×3, first 2 shown]
	v_mul_f16_e32 v211, 0xbb9c, v43
	v_mul_f16_e32 v212, 0xb4f2, v43
	v_fmac_f16_e32 v110, 0x34f2, v208
	v_fmac_f16_e32 v204, 0x34f2, v45
	v_fmamk_f16 v43, v219, 0x3b9c, v51
	v_fmamk_f16 v45, v217, 0xbb9c, v47
	v_fmac_f16_e32 v51, 0xbb9c, v219
	v_fmac_f16_e32 v46, 0x34f2, v210
	;; [unrolled: 1-line block ×3, first 2 shown]
	v_mul_f16_e32 v208, 0xbb9c, v110
	v_mul_f16_e32 v110, 0x34f2, v110
	v_add_f16_e32 v209, v209, v220
	v_add_f16_e32 v210, v216, v223
	v_fmac_f16_e32 v43, 0x38b4, v215
	v_fmac_f16_e32 v45, 0xb8b4, v203
	;; [unrolled: 1-line block ×6, first 2 shown]
	v_add_f16_e32 v50, v50, v202
	v_fmac_f16_e32 v43, 0x34f2, v210
	v_fmac_f16_e32 v45, 0x34f2, v209
	v_fmamk_f16 v202, v199, 0xbb9c, v224
	v_fmamk_f16 v206, v201, 0x3b9c, v52
	v_fmac_f16_e32 v224, 0x3b9c, v199
	v_fmac_f16_e32 v52, 0xbb9c, v201
	;; [unrolled: 1-line block ×4, first 2 shown]
	v_add_f16_e32 v198, v198, v205
	v_mul_f16_e32 v205, 0xb8b4, v43
	v_mul_f16_e32 v213, 0x38b4, v45
	v_fmac_f16_e32 v202, 0xb8b4, v48
	v_fmac_f16_e32 v206, 0x38b4, v197
	;; [unrolled: 1-line block ×5, first 2 shown]
	v_mul_f16_e32 v197, 0xb8b4, v51
	v_mul_f16_e32 v51, 0xba79, v51
	v_fmac_f16_e32 v211, 0xb4f2, v46
	v_fmac_f16_e32 v212, 0x3b9c, v46
	;; [unrolled: 1-line block ×10, first 2 shown]
	v_sub_f16_e32 v199, v222, v208
	v_sub_f16_e32 v48, v49, v110
	v_add_f16_e32 v46, v200, v211
	v_add_f16_e32 v43, v204, v212
	;; [unrolled: 1-line block ×6, first 2 shown]
	v_pk_add_f16 v214, v44, v214
	v_sub_f16_e32 v47, v202, v205
	v_sub_f16_e32 v49, v206, v213
	v_add_f16_e32 v110, v224, v197
	v_add_f16_e32 v198, v52, v51
	v_pack_b32_f16 v48, v199, v48
	v_sub_f16_e32 v199, v200, v211
	v_sub_f16_e32 v197, v224, v197
	;; [unrolled: 1-line block ×4, first 2 shown]
	v_pack_b32_f16 v44, v46, v43
	v_pack_b32_f16 v43, v45, v216
	;; [unrolled: 1-line block ×3, first 2 shown]
	v_pk_add_f16 v45, v207, v214
	v_pack_b32_f16 v47, v47, v49
	v_pk_add_f16 v50, v207, v214 neg_lo:[0,1] neg_hi:[0,1]
	v_pack_b32_f16 v49, v110, v198
	v_pack_b32_f16 v52, v197, v51
	;; [unrolled: 1-line block ×3, first 2 shown]
	ds_write2_b64 v111, v[193:194], v[41:42] offset0:2 offset1:3
	ds_write_b64 v111, v[195:196] offset:32
	ds_write2_b64 v112, v[45:46], v[43:44] offset1:1
	ds_write2_b64 v112, v[49:50], v[47:48] offset0:2 offset1:3
	ds_write_b64 v112, v[51:52] offset:32
	s_waitcnt lgkmcnt(0)
	s_barrier
	buffer_gl0_inv
	ds_read2_b32 v[41:42], v82 offset0:128 offset1:224
	ds_read2_b32 v[48:49], v79 offset0:64 offset1:160
	ds_read2_b32 v[195:196], v99 offset0:64 offset1:160
	ds_read2_b32 v[50:51], v91 offset0:128 offset1:224
	ds_read2_b32 v[197:198], v103 offset0:64 offset1:160
	ds_read2_b32 v[199:200], v76 offset1:96
	ds_read2_b32 v[201:202], v71 offset0:64 offset1:160
	s_waitcnt lgkmcnt(6)
	v_lshrrev_b32_e32 v43, 16, v42
	v_mul_f16_sdwa v44, v8, v42 dst_sel:DWORD dst_unused:UNUSED_PAD src0_sel:WORD_1 src1_sel:DWORD
	s_waitcnt lgkmcnt(5)
	v_lshrrev_b32_e32 v45, 16, v48
	v_mul_f16_sdwa v52, v9, v48 dst_sel:DWORD dst_unused:UNUSED_PAD src0_sel:WORD_1 src1_sel:DWORD
	;; [unrolled: 3-line block ×3, first 2 shown]
	v_fma_f16 v47, v8, v43, -v44
	v_lshrrev_b32_e32 v43, 16, v196
	v_fma_f16 v204, v9, v45, -v52
	v_mul_f16_sdwa v44, v10, v196 dst_sel:DWORD dst_unused:UNUSED_PAD src0_sel:WORD_1 src1_sel:DWORD
	v_mul_f16_sdwa v205, v9, v45 dst_sel:DWORD dst_unused:UNUSED_PAD src0_sel:WORD_1 src1_sel:DWORD
	s_waitcnt lgkmcnt(3)
	v_lshrrev_b32_e32 v45, 16, v50
	v_mul_f16_sdwa v52, v11, v50 dst_sel:DWORD dst_unused:UNUSED_PAD src0_sel:WORD_1 src1_sel:DWORD
	v_mul_f16_sdwa v207, v10, v43 dst_sel:DWORD dst_unused:UNUSED_PAD src0_sel:WORD_1 src1_sel:DWORD
	v_fma_f16 v206, v10, v43, -v44
	v_lshrrev_b32_e32 v43, 16, v49
	v_mul_f16_sdwa v209, v11, v45 dst_sel:DWORD dst_unused:UNUSED_PAD src0_sel:WORD_1 src1_sel:DWORD
	v_fma_f16 v208, v11, v45, -v52
	v_fmac_f16_e32 v207, v10, v196
	v_fmac_f16_e32 v46, v8, v42
	v_mul_f16_sdwa v44, v5, v43 dst_sel:DWORD dst_unused:UNUSED_PAD src0_sel:WORD_1 src1_sel:DWORD
	v_fmac_f16_e32 v209, v11, v50
	ds_read2_b32 v[10:11], v98 offset0:128 offset1:224
	v_lshrrev_b32_e32 v8, 16, v51
	v_fmac_f16_e32 v205, v9, v48
	v_fmac_f16_e32 v44, v5, v49
	v_mul_f16_sdwa v9, v5, v49 dst_sel:DWORD dst_unused:UNUSED_PAD src0_sel:WORD_1 src1_sel:DWORD
	v_mul_f16_sdwa v42, v7, v51 dst_sel:DWORD dst_unused:UNUSED_PAD src0_sel:WORD_1 src1_sel:DWORD
	s_waitcnt lgkmcnt(3)
	v_lshrrev_b32_e32 v49, 16, v197
	v_mul_f16_sdwa v45, v7, v8 dst_sel:DWORD dst_unused:UNUSED_PAD src0_sel:WORD_1 src1_sel:DWORD
	v_mul_f16_sdwa v48, v4, v197 dst_sel:DWORD dst_unused:UNUSED_PAD src0_sel:WORD_1 src1_sel:DWORD
	v_fma_f16 v111, v5, v43, -v9
	v_fma_f16 v110, v7, v8, -v42
	s_waitcnt lgkmcnt(2)
	v_lshrrev_b32_e32 v5, 16, v199
	v_lshrrev_b32_e32 v8, 16, v198
	v_mul_f16_sdwa v50, v4, v49 dst_sel:DWORD dst_unused:UNUSED_PAD src0_sel:WORD_1 src1_sel:DWORD
	v_fmac_f16_e32 v45, v7, v51
	v_fma_f16 v48, v4, v49, -v48
	v_mul_f16_sdwa v7, v6, v199 dst_sel:DWORD dst_unused:UNUSED_PAD src0_sel:WORD_1 src1_sel:DWORD
	v_lshrrev_b32_e32 v9, 16, v200
	v_mul_f16_sdwa v194, v6, v5 dst_sel:DWORD dst_unused:UNUSED_PAD src0_sel:WORD_1 src1_sel:DWORD
	v_mul_f16_sdwa v42, v36, v8 dst_sel:DWORD dst_unused:UNUSED_PAD src0_sel:WORD_1 src1_sel:DWORD
	v_fmac_f16_e32 v50, v4, v197
	v_mul_f16_sdwa v4, v36, v198 dst_sel:DWORD dst_unused:UNUSED_PAD src0_sel:WORD_1 src1_sel:DWORD
	ds_read2_b32 v[196:197], v104 offset1:96
	v_fma_f16 v193, v6, v5, -v7
	v_mul_f16_sdwa v43, v38, v9 dst_sel:DWORD dst_unused:UNUSED_PAD src0_sel:WORD_1 src1_sel:DWORD
	v_fmac_f16_e32 v194, v6, v199
	v_fmac_f16_e32 v42, v36, v198
	v_mul_f16_sdwa v5, v38, v200 dst_sel:DWORD dst_unused:UNUSED_PAD src0_sel:WORD_1 src1_sel:DWORD
	s_waitcnt lgkmcnt(1)
	v_lshrrev_b32_e32 v6, 16, v10
	v_mul_f16_sdwa v7, v37, v10 dst_sel:DWORD dst_unused:UNUSED_PAD src0_sel:WORD_1 src1_sel:DWORD
	v_fma_f16 v36, v36, v8, -v4
	ds_read2_b32 v[198:199], v93 offset0:64 offset1:160
	v_lshrrev_b32_e32 v4, 16, v201
	v_fmac_f16_e32 v43, v38, v200
	v_fma_f16 v38, v38, v9, -v5
	v_fma_f16 v52, v37, v6, -v7
	v_lshrrev_b32_e32 v5, 16, v11
	v_lshrrev_b32_e32 v200, 16, v202
	v_mul_f16_sdwa v49, v37, v6 dst_sel:DWORD dst_unused:UNUSED_PAD src0_sel:WORD_1 src1_sel:DWORD
	v_mul_f16_sdwa v51, v39, v4 dst_sel:DWORD dst_unused:UNUSED_PAD src0_sel:WORD_1 src1_sel:DWORD
	;; [unrolled: 1-line block ×6, first 2 shown]
	v_fmac_f16_e32 v49, v37, v10
	v_fmac_f16_e32 v51, v39, v201
	v_fma_f16 v10, v35, v200, -v6
	ds_read2_b32 v[200:201], v88 offset1:96
	v_fma_f16 v112, v39, v4, -v8
	v_fmac_f16_e32 v7, v33, v11
	v_mul_f16_sdwa v4, v33, v11 dst_sel:DWORD dst_unused:UNUSED_PAD src0_sel:WORD_1 src1_sel:DWORD
	v_fmac_f16_e32 v9, v35, v202
	s_waitcnt lgkmcnt(2)
	v_lshrrev_b32_e32 v8, 16, v196
	v_mul_f16_sdwa v11, v32, v196 dst_sel:DWORD dst_unused:UNUSED_PAD src0_sel:WORD_1 src1_sel:DWORD
	ds_read2_b32 v[202:203], v97 offset1:96
	v_fma_f16 v33, v33, v5, -v4
	s_waitcnt lgkmcnt(2)
	v_lshrrev_b32_e32 v4, 16, v198
	v_mul_f16_sdwa v5, v34, v198 dst_sel:DWORD dst_unused:UNUSED_PAD src0_sel:WORD_1 src1_sel:DWORD
	v_fma_f16 v6, v32, v8, -v11
	v_mul_f16_sdwa v11, v32, v8 dst_sel:DWORD dst_unused:UNUSED_PAD src0_sel:WORD_1 src1_sel:DWORD
	v_lshrrev_b32_e32 v39, 16, v197
	v_mul_f16_sdwa v37, v34, v4 dst_sel:DWORD dst_unused:UNUSED_PAD src0_sel:WORD_1 src1_sel:DWORD
	v_fma_f16 v35, v34, v4, -v5
	v_lshrrev_b32_e32 v211, 16, v199
	v_fmac_f16_e32 v11, v32, v196
	v_mul_f16_sdwa v4, v0, v39 dst_sel:DWORD dst_unused:UNUSED_PAD src0_sel:WORD_1 src1_sel:DWORD
	v_mul_f16_sdwa v5, v1, v210 dst_sel:DWORD dst_unused:UNUSED_PAD src0_sel:WORD_1 src1_sel:DWORD
	;; [unrolled: 1-line block ×3, first 2 shown]
	v_fmac_f16_e32 v37, v34, v198
	v_mul_f16_sdwa v8, v2, v211 dst_sel:DWORD dst_unused:UNUSED_PAD src0_sel:WORD_1 src1_sel:DWORD
	v_fmac_f16_e32 v4, v0, v197
	v_fmac_f16_e32 v5, v1, v195
	v_mul_f16_sdwa v34, v1, v195 dst_sel:DWORD dst_unused:UNUSED_PAD src0_sel:WORD_1 src1_sel:DWORD
	v_mul_f16_sdwa v195, v2, v199 dst_sel:DWORD dst_unused:UNUSED_PAD src0_sel:WORD_1 src1_sel:DWORD
	v_fma_f16 v0, v0, v39, -v32
	s_waitcnt lgkmcnt(1)
	v_lshrrev_b32_e32 v32, 16, v201
	v_mul_f16_sdwa v39, v113, v201 dst_sel:DWORD dst_unused:UNUSED_PAD src0_sel:WORD_1 src1_sel:DWORD
	v_fmac_f16_e32 v8, v2, v199
	v_fma_f16 v1, v1, v210, -v34
	v_fma_f16 v2, v2, v211, -v195
	s_waitcnt lgkmcnt(0)
	v_lshrrev_b32_e32 v34, 16, v202
	v_mul_f16_sdwa v195, v113, v32 dst_sel:DWORD dst_unused:UNUSED_PAD src0_sel:WORD_1 src1_sel:DWORD
	v_fma_f16 v32, v113, v32, -v39
	v_add_f16_e32 v198, v204, v208
	v_sub_f16_e32 v199, v204, v208
	v_add_f16_e32 v197, v34, v204
	v_fmac_f16_e32 v195, v113, v201
	v_add_f16_e32 v113, v206, v32
	v_fmac_f16_e32 v34, -0.5, v198
	v_add_f16_e32 v198, v202, v205
	v_add_f16_e32 v201, v197, v208
	;; [unrolled: 1-line block ×3, first 2 shown]
	v_fmac_f16_e32 v47, -0.5, v113
	v_add_f16_e32 v113, v207, v195
	v_sub_f16_e32 v204, v207, v195
	v_add_f16_e32 v207, v46, v207
	v_lshrrev_b32_e32 v39, 16, v200
	v_sub_f16_e32 v206, v206, v32
	v_add_f16_e32 v208, v198, v209
	v_add_f16_e32 v32, v197, v32
	v_add_f16_e32 v207, v207, v195
	v_mul_f16_sdwa v196, v3, v200 dst_sel:DWORD dst_unused:UNUSED_PAD src0_sel:WORD_1 src1_sel:DWORD
	v_mul_f16_sdwa v212, v3, v39 dst_sel:DWORD dst_unused:UNUSED_PAD src0_sel:WORD_1 src1_sel:DWORD
	v_fmac_f16_e32 v46, -0.5, v113
	v_add_f16_e32 v197, v201, v32
	v_add_f16_e32 v195, v208, v207
	v_fmamk_f16 v113, v204, 0x3aee, v47
	v_add_f16_e32 v198, v205, v209
	v_fma_f16 v39, v3, v39, -v196
	v_fmac_f16_e32 v212, v3, v200
	v_pack_b32_f16 v3, v195, v197
	ds_read2_b32 v[195:196], v89 offset0:64 offset1:160
	v_sub_f16_e32 v205, v205, v209
	v_mul_f16_e32 v209, 0xbaee, v113
	v_fmamk_f16 v210, v206, 0xbaee, v46
	v_mul_f16_e32 v113, 0.5, v113
	v_fma_f16 v202, -0.5, v198, v202
	v_fmac_f16_e32 v47, 0xbaee, v204
	v_fmamk_f16 v211, v205, 0x3aee, v34
	v_fmac_f16_e32 v209, 0.5, v210
	v_fmac_f16_e32 v113, 0x3aee, v210
	v_fmamk_f16 v210, v199, 0xbaee, v202
	v_fmac_f16_e32 v46, 0x3aee, v206
	v_mul_f16_e32 v204, 0xbaee, v47
	v_mul_f16_e32 v206, -0.5, v47
	v_add_f16_e32 v213, v211, v113
	v_add_f16_e32 v198, v210, v209
	v_fmac_f16_e32 v202, 0x3aee, v199
	v_fmac_f16_e32 v34, 0xbaee, v205
	v_fmac_f16_e32 v204, -0.5, v46
	v_fmac_f16_e32 v206, 0x3aee, v46
	v_sub_f16_e32 v199, v208, v207
	v_sub_f16_e32 v32, v201, v32
	v_pack_b32_f16 v200, v198, v213
	v_add_f16_e32 v205, v202, v204
	v_add_f16_e32 v207, v34, v206
	s_waitcnt lgkmcnt(0)
	v_mul_f16_sdwa v201, v109, v195 dst_sel:DWORD dst_unused:UNUSED_PAD src0_sel:WORD_1 src1_sel:DWORD
	v_pack_b32_f16 v32, v199, v32
	v_lshrrev_b32_e32 v199, 16, v195
	ds_read2_b32 v[197:198], v105 offset0:64 offset1:160
	ds_read2_b32 v[46:47], v68 offset0:128 offset1:224
	s_waitcnt lgkmcnt(0)
	s_barrier
	buffer_gl0_inv
	ds_write2_b32 v191, v3, v200 offset1:10
	v_pack_b32_f16 v3, v205, v207
	v_sub_f16_e32 v202, v202, v204
	v_mul_f16_sdwa v204, v109, v199 dst_sel:DWORD dst_unused:UNUSED_PAD src0_sel:WORD_1 src1_sel:DWORD
	v_sub_f16_e32 v34, v34, v206
	v_fma_f16 v199, v109, v199, -v201
	v_sub_f16_e32 v200, v210, v209
	v_sub_f16_e32 v113, v211, v113
	ds_write2_b32 v191, v3, v32 offset0:20 offset1:30
	v_fmac_f16_e32 v204, v109, v195
	v_pack_b32_f16 v32, v202, v34
	v_add_f16_e32 v34, v193, v199
	v_pack_b32_f16 v3, v200, v113
	v_lshrrev_b32_e32 v113, 16, v203
	v_add_f16_e32 v195, v194, v204
	v_add_f16_e32 v200, v48, v193
	v_fmac_f16_e32 v48, -0.5, v34
	v_sub_f16_e32 v34, v194, v204
	v_add_f16_e32 v109, v44, v45
	v_add_f16_e32 v194, v50, v194
	v_fmac_f16_e32 v50, -0.5, v195
	v_sub_f16_e32 v193, v193, v199
	v_fmamk_f16 v195, v34, 0x3aee, v48
	v_fmac_f16_e32 v48, 0xbaee, v34
	v_sub_f16_e32 v34, v111, v110
	v_add_f16_e32 v202, v113, v111
	v_add_f16_e32 v111, v111, v110
	;; [unrolled: 1-line block ×3, first 2 shown]
	v_fmac_f16_e32 v203, -0.5, v109
	v_fmamk_f16 v109, v193, 0xbaee, v50
	v_sub_f16_e32 v44, v44, v45
	v_fmac_f16_e32 v113, -0.5, v111
	v_mul_f16_e32 v111, 0xbaee, v195
	v_mul_f16_e32 v195, 0.5, v195
	v_fmamk_f16 v205, v34, 0xbaee, v203
	v_fmac_f16_e32 v203, 0x3aee, v34
	v_add_f16_e32 v34, v202, v110
	v_add_f16_e32 v110, v201, v45
	;; [unrolled: 1-line block ×4, first 2 shown]
	v_fmac_f16_e32 v111, 0.5, v109
	v_fmac_f16_e32 v195, 0x3aee, v109
	v_fmamk_f16 v109, v44, 0x3aee, v113
	v_fmac_f16_e32 v50, 0x3aee, v193
	v_mul_f16_e32 v193, 0xbaee, v48
	v_add_f16_e32 v199, v110, v45
	v_mul_f16_e32 v48, -0.5, v48
	v_add_f16_e32 v200, v34, v194
	v_add_f16_e32 v201, v205, v111
	;; [unrolled: 1-line block ×3, first 2 shown]
	v_fmac_f16_e32 v193, -0.5, v50
	v_fmac_f16_e32 v113, 0xbaee, v44
	v_fmac_f16_e32 v48, 0x3aee, v50
	ds_write2_b32 v191, v3, v32 offset0:40 offset1:50
	v_pack_b32_f16 v32, v199, v200
	v_pack_b32_f16 v44, v201, v202
	v_add_f16_e32 v3, v203, v193
	v_add_f16_e32 v50, v113, v48
	v_sub_f16_e32 v45, v110, v45
	v_sub_f16_e32 v34, v34, v194
	ds_write2_b32 v190, v32, v44 offset1:10
	v_lshrrev_b32_e32 v32, 16, v196
	v_mul_f16_sdwa v44, v182, v196 dst_sel:DWORD dst_unused:UNUSED_PAD src0_sel:WORD_1 src1_sel:DWORD
	v_pack_b32_f16 v3, v3, v50
	v_lshrrev_b32_e32 v50, 16, v197
	v_pack_b32_f16 v34, v45, v34
	v_mul_f16_sdwa v110, v182, v32 dst_sel:DWORD dst_unused:UNUSED_PAD src0_sel:WORD_1 src1_sel:DWORD
	v_fma_f16 v32, v182, v32, -v44
	v_sub_f16_e32 v45, v205, v111
	v_sub_f16_e32 v44, v109, v195
	v_add_f16_e32 v109, v50, v52
	v_fmac_f16_e32 v110, v182, v196
	v_add_f16_e32 v111, v38, v32
	v_sub_f16_e32 v48, v113, v48
	v_add_f16_e32 v113, v52, v112
	v_sub_f16_e32 v52, v52, v112
	v_add_f16_e32 v109, v109, v112
	v_add_f16_e32 v112, v36, v38
	v_fmac_f16_e32 v36, -0.5, v111
	v_add_f16_e32 v111, v43, v110
	v_sub_f16_e32 v182, v43, v110
	v_sub_f16_e32 v191, v203, v193
	v_fmac_f16_e32 v50, -0.5, v113
	v_add_f16_e32 v113, v197, v49
	v_add_f16_e32 v43, v42, v43
	v_fmac_f16_e32 v42, -0.5, v111
	v_fmamk_f16 v111, v182, 0x3aee, v36
	v_sub_f16_e32 v38, v38, v32
	v_add_f16_e32 v193, v49, v51
	v_add_f16_e32 v113, v113, v51
	v_sub_f16_e32 v49, v49, v51
	v_mul_f16_e32 v51, 0xbaee, v111
	v_fmamk_f16 v194, v38, 0xbaee, v42
	v_mul_f16_e32 v111, 0.5, v111
	v_fma_f16 v193, -0.5, v193, v197
	v_add_f16_e32 v43, v43, v110
	v_add_f16_e32 v32, v112, v32
	v_fmac_f16_e32 v51, 0.5, v194
	v_fmac_f16_e32 v111, 0x3aee, v194
	v_fmamk_f16 v110, v52, 0xbaee, v193
	v_fmamk_f16 v112, v49, 0x3aee, v50
	v_fmac_f16_e32 v36, 0xbaee, v182
	v_pack_b32_f16 v44, v45, v44
	v_add_f16_e32 v45, v113, v43
	v_add_f16_e32 v194, v109, v32
	;; [unrolled: 1-line block ×4, first 2 shown]
	v_pack_b32_f16 v48, v191, v48
	v_fmac_f16_e32 v42, 0x3aee, v38
	v_mul_f16_e32 v38, 0xbaee, v36
	v_mul_f16_e32 v36, -0.5, v36
	ds_write2_b32 v190, v3, v34 offset0:20 offset1:30
	v_pack_b32_f16 v3, v45, v194
	v_pack_b32_f16 v34, v195, v196
	ds_write2_b32 v190, v44, v48 offset0:40 offset1:50
	v_fmac_f16_e32 v38, -0.5, v42
	v_fmac_f16_e32 v36, 0x3aee, v42
	v_lshrrev_b32_e32 v42, 16, v46
	v_mul_f16_sdwa v44, v173, v46 dst_sel:DWORD dst_unused:UNUSED_PAD src0_sel:WORD_1 src1_sel:DWORD
	ds_write2_b32 v192, v3, v34 offset1:10
	v_sub_f16_e32 v3, v113, v43
	v_sub_f16_e32 v32, v109, v32
	v_mul_f16_sdwa v48, v173, v42 dst_sel:DWORD dst_unused:UNUSED_PAD src0_sel:WORD_1 src1_sel:DWORD
	v_fma_f16 v42, v173, v42, -v44
	v_fmac_f16_e32 v193, 0x3aee, v52
	v_fmac_f16_e32 v50, 0xbaee, v49
	v_pack_b32_f16 v3, v3, v32
	v_fmac_f16_e32 v48, v173, v46
	v_add_f16_e32 v32, v35, v42
	v_add_f16_e32 v43, v193, v38
	;; [unrolled: 1-line block ×3, first 2 shown]
	v_sub_f16_e32 v36, v50, v36
	v_add_f16_e32 v44, v7, v9
	v_add_f16_e32 v46, v37, v48
	v_add_f16_e32 v50, v6, v35
	v_fmac_f16_e32 v6, -0.5, v32
	v_sub_f16_e32 v32, v37, v48
	v_sub_f16_e32 v34, v110, v51
	;; [unrolled: 1-line block ×3, first 2 shown]
	v_pack_b32_f16 v43, v43, v45
	v_lshrrev_b32_e32 v45, 16, v198
	v_add_f16_e32 v51, v198, v7
	v_add_f16_e32 v37, v11, v37
	v_fmac_f16_e32 v11, -0.5, v46
	v_fmamk_f16 v46, v32, 0x3aee, v6
	v_fmac_f16_e32 v6, 0xbaee, v32
	v_fmac_f16_e32 v198, -0.5, v44
	v_sub_f16_e32 v32, v33, v10
	v_sub_f16_e32 v49, v112, v111
	;; [unrolled: 1-line block ×3, first 2 shown]
	v_pack_b32_f16 v36, v38, v36
	v_sub_f16_e32 v7, v7, v9
	v_fmamk_f16 v38, v32, 0xbaee, v198
	v_fmac_f16_e32 v198, 0x3aee, v32
	v_add_f16_e32 v32, v45, v33
	v_add_f16_e32 v33, v33, v10
	v_pack_b32_f16 v34, v34, v49
	v_fmamk_f16 v44, v35, 0xbaee, v11
	ds_write2_b32 v192, v43, v3 offset0:20 offset1:30
	ds_write2_b32 v192, v34, v36 offset0:40 offset1:50
	v_fmac_f16_e32 v45, -0.5, v33
	v_mul_f16_e32 v33, 0xbaee, v46
	v_mul_f16_e32 v34, 0.5, v46
	v_add_f16_e32 v10, v32, v10
	v_add_f16_e32 v32, v51, v9
	;; [unrolled: 1-line block ×4, first 2 shown]
	v_fmac_f16_e32 v33, 0.5, v44
	v_fmac_f16_e32 v34, 0x3aee, v44
	v_fmamk_f16 v37, v7, 0x3aee, v45
	v_fmac_f16_e32 v11, 0x3aee, v35
	v_mul_f16_e32 v35, 0xbaee, v6
	v_add_f16_e32 v42, v32, v9
	v_add_f16_e32 v43, v10, v36
	;; [unrolled: 1-line block ×3, first 2 shown]
	v_mul_f16_e32 v6, -0.5, v6
	v_add_f16_e32 v46, v37, v34
	v_fmac_f16_e32 v35, -0.5, v11
	v_pack_b32_f16 v42, v42, v43
	v_fmac_f16_e32 v45, 0xbaee, v7
	v_fmac_f16_e32 v6, 0x3aee, v11
	v_pack_b32_f16 v7, v44, v46
	v_lshrrev_b32_e32 v11, 16, v47
	v_sub_f16_e32 v9, v32, v9
	v_mul_f16_sdwa v32, v108, v47 dst_sel:DWORD dst_unused:UNUSED_PAD src0_sel:WORD_1 src1_sel:DWORD
	v_sub_f16_e32 v10, v10, v36
	ds_write2_b32 v188, v42, v7 offset1:10
	v_mul_f16_sdwa v36, v108, v11 dst_sel:DWORD dst_unused:UNUSED_PAD src0_sel:WORD_1 src1_sel:DWORD
	v_add_f16_e32 v3, v198, v35
	v_fma_f16 v7, v108, v11, -v32
	v_add_f16_e32 v43, v45, v6
	v_pack_b32_f16 v9, v9, v10
	v_fmac_f16_e32 v36, v108, v47
	v_sub_f16_e32 v10, v38, v33
	v_add_f16_e32 v11, v2, v7
	v_add_f16_e32 v32, v5, v212
	;; [unrolled: 1-line block ×4, first 2 shown]
	v_pack_b32_f16 v3, v3, v43
	v_fmac_f16_e32 v0, -0.5, v11
	v_sub_f16_e32 v11, v8, v36
	v_lshrrev_b32_e32 v33, 16, v41
	v_add_f16_e32 v43, v41, v5
	v_add_f16_e32 v8, v4, v8
	v_fmac_f16_e32 v4, -0.5, v38
	v_fmamk_f16 v38, v11, 0x3aee, v0
	v_fmac_f16_e32 v0, 0xbaee, v11
	v_fmac_f16_e32 v41, -0.5, v32
	v_sub_f16_e32 v11, v1, v39
	v_sub_f16_e32 v35, v198, v35
	;; [unrolled: 1-line block ×5, first 2 shown]
	v_fmamk_f16 v37, v11, 0xbaee, v41
	v_fmac_f16_e32 v41, 0x3aee, v11
	v_add_f16_e32 v11, v33, v1
	v_add_f16_e32 v1, v1, v39
	v_fmamk_f16 v32, v2, 0xbaee, v4
	v_pack_b32_f16 v6, v35, v6
	v_add_f16_e32 v8, v8, v36
	v_mul_f16_e32 v35, 0xbaee, v38
	v_fmac_f16_e32 v33, -0.5, v1
	v_sub_f16_e32 v5, v5, v212
	v_mul_f16_e32 v36, 0.5, v38
	v_fmac_f16_e32 v4, 0x3aee, v2
	v_mul_f16_e32 v2, 0xbaee, v0
	v_mul_f16_e32 v0, -0.5, v0
	v_add_f16_e32 v11, v11, v39
	v_add_f16_e32 v1, v43, v212
	;; [unrolled: 1-line block ×3, first 2 shown]
	v_fmac_f16_e32 v35, 0.5, v32
	v_fmac_f16_e32 v36, 0x3aee, v32
	v_fmamk_f16 v32, v5, 0x3aee, v33
	v_fmac_f16_e32 v2, -0.5, v4
	v_fmac_f16_e32 v33, 0xbaee, v5
	v_fmac_f16_e32 v0, 0x3aee, v4
	v_add_f16_e32 v38, v1, v8
	v_add_f16_e32 v39, v11, v7
	;; [unrolled: 1-line block ×4, first 2 shown]
	v_pack_b32_f16 v10, v10, v34
	v_add_f16_e32 v34, v41, v2
	v_sub_f16_e32 v1, v1, v8
	v_sub_f16_e32 v7, v11, v7
	v_add_f16_e32 v8, v33, v0
	v_sub_f16_e32 v2, v41, v2
	v_sub_f16_e32 v11, v37, v35
	;; [unrolled: 1-line block ×4, first 2 shown]
	v_pack_b32_f16 v38, v38, v39
	v_pack_b32_f16 v4, v4, v5
	;; [unrolled: 1-line block ×6, first 2 shown]
	ds_write2_b32 v188, v3, v9 offset0:20 offset1:30
	ds_write2_b32 v188, v10, v6 offset0:40 offset1:50
	ds_write2_b32 v189, v38, v4 offset1:10
	ds_write2_b32 v189, v5, v1 offset0:20 offset1:30
	ds_write2_b32 v189, v7, v0 offset0:40 offset1:50
	s_waitcnt lgkmcnt(0)
	s_barrier
	buffer_gl0_inv
	ds_read2_b32 v[0:1], v82 offset0:128 offset1:224
	ds_read2_b32 v[2:3], v79 offset0:64 offset1:160
	;; [unrolled: 1-line block ×4, first 2 shown]
	ds_read2_b32 v[35:36], v76 offset1:96
	ds_read2_b32 v[42:43], v104 offset1:96
	ds_read2_b32 v[44:45], v93 offset0:64 offset1:160
	ds_read2_b32 v[46:47], v88 offset1:96
	s_waitcnt lgkmcnt(7)
	v_lshrrev_b32_e32 v4, 16, v1
	s_waitcnt lgkmcnt(6)
	v_lshrrev_b32_e32 v33, 16, v2
	v_mul_f16_sdwa v10, v29, v2 dst_sel:DWORD dst_unused:UNUSED_PAD src0_sel:WORD_1 src1_sel:DWORD
	v_mul_f16_sdwa v9, v28, v1 dst_sel:DWORD dst_unused:UNUSED_PAD src0_sel:WORD_1 src1_sel:DWORD
	s_waitcnt lgkmcnt(4)
	v_mul_f16_sdwa v37, v31, v7 dst_sel:DWORD dst_unused:UNUSED_PAD src0_sel:WORD_1 src1_sel:DWORD
	v_mul_f16_sdwa v32, v28, v4 dst_sel:DWORD dst_unused:UNUSED_PAD src0_sel:WORD_1 src1_sel:DWORD
	;; [unrolled: 1-line block ×3, first 2 shown]
	v_fma_f16 v48, v29, v33, -v10
	ds_read2_b32 v[10:11], v103 offset0:64 offset1:160
	v_fma_f16 v34, v28, v4, -v9
	v_lshrrev_b32_e32 v4, 16, v6
	v_mul_f16_sdwa v9, v30, v6 dst_sel:DWORD dst_unused:UNUSED_PAD src0_sel:WORD_1 src1_sel:DWORD
	v_lshrrev_b32_e32 v33, 16, v7
	v_fmac_f16_e32 v32, v28, v1
	v_fmac_f16_e32 v49, v29, v2
	v_mul_f16_sdwa v51, v30, v4 dst_sel:DWORD dst_unused:UNUSED_PAD src0_sel:WORD_1 src1_sel:DWORD
	v_fma_f16 v50, v30, v4, -v9
	v_lshrrev_b32_e32 v4, 16, v3
	ds_read2_b32 v[1:2], v98 offset0:128 offset1:224
	v_mul_f16_sdwa v108, v31, v33 dst_sel:DWORD dst_unused:UNUSED_PAD src0_sel:WORD_1 src1_sel:DWORD
	v_lshrrev_b32_e32 v9, 16, v8
	v_fmac_f16_e32 v51, v30, v6
	v_mul_f16_sdwa v28, v25, v4 dst_sel:DWORD dst_unused:UNUSED_PAD src0_sel:WORD_1 src1_sel:DWORD
	v_mul_f16_sdwa v6, v27, v8 dst_sel:DWORD dst_unused:UNUSED_PAD src0_sel:WORD_1 src1_sel:DWORD
	v_fmac_f16_e32 v108, v31, v7
	v_mul_f16_sdwa v29, v27, v9 dst_sel:DWORD dst_unused:UNUSED_PAD src0_sel:WORD_1 src1_sel:DWORD
	v_fma_f16 v52, v31, v33, -v37
	v_fmac_f16_e32 v28, v25, v3
	v_mul_f16_sdwa v3, v25, v3 dst_sel:DWORD dst_unused:UNUSED_PAD src0_sel:WORD_1 src1_sel:DWORD
	s_waitcnt lgkmcnt(1)
	v_lshrrev_b32_e32 v7, 16, v10
	v_fmac_f16_e32 v29, v27, v8
	v_fma_f16 v37, v27, v9, -v6
	v_lshrrev_b32_e32 v6, 16, v35
	v_fma_f16 v38, v25, v4, -v3
	v_mul_f16_sdwa v8, v26, v35 dst_sel:DWORD dst_unused:UNUSED_PAD src0_sel:WORD_1 src1_sel:DWORD
	ds_read2_b32 v[3:4], v71 offset0:64 offset1:160
	v_mul_f16_sdwa v31, v24, v7 dst_sel:DWORD dst_unused:UNUSED_PAD src0_sel:WORD_1 src1_sel:DWORD
	v_mul_f16_sdwa v30, v24, v10 dst_sel:DWORD dst_unused:UNUSED_PAD src0_sel:WORD_1 src1_sel:DWORD
	;; [unrolled: 1-line block ×3, first 2 shown]
	v_fma_f16 v39, v26, v6, -v8
	s_waitcnt lgkmcnt(1)
	v_lshrrev_b32_e32 v8, 16, v1
	v_fmac_f16_e32 v31, v24, v10
	v_mul_f16_sdwa v10, v21, v1 dst_sel:DWORD dst_unused:UNUSED_PAD src0_sel:WORD_1 src1_sel:DWORD
	v_fma_f16 v27, v24, v7, -v30
	v_lshrrev_b32_e32 v30, 16, v11
	v_lshrrev_b32_e32 v33, 16, v36
	v_fmac_f16_e32 v41, v26, v35
	v_mul_f16_sdwa v6, v20, v11 dst_sel:DWORD dst_unused:UNUSED_PAD src0_sel:WORD_1 src1_sel:DWORD
	v_mul_f16_sdwa v7, v22, v36 dst_sel:DWORD dst_unused:UNUSED_PAD src0_sel:WORD_1 src1_sel:DWORD
	v_fma_f16 v35, v21, v8, -v10
	v_lshrrev_b32_e32 v10, 16, v2
	v_mul_f16_sdwa v9, v20, v30 dst_sel:DWORD dst_unused:UNUSED_PAD src0_sel:WORD_1 src1_sel:DWORD
	v_mul_f16_sdwa v25, v22, v33 dst_sel:DWORD dst_unused:UNUSED_PAD src0_sel:WORD_1 src1_sel:DWORD
	v_fma_f16 v24, v20, v30, -v6
	v_fma_f16 v26, v22, v33, -v7
	v_mul_f16_sdwa v30, v21, v8 dst_sel:DWORD dst_unused:UNUSED_PAD src0_sel:WORD_1 src1_sel:DWORD
	v_mul_f16_sdwa v7, v17, v10 dst_sel:DWORD dst_unused:UNUSED_PAD src0_sel:WORD_1 src1_sel:DWORD
	v_fmac_f16_e32 v25, v22, v36
	s_waitcnt lgkmcnt(0)
	v_lshrrev_b32_e32 v6, 16, v3
	v_lshrrev_b32_e32 v22, 16, v4
	v_fmac_f16_e32 v30, v21, v1
	v_fmac_f16_e32 v7, v17, v2
	v_mul_f16_sdwa v1, v17, v2 dst_sel:DWORD dst_unused:UNUSED_PAD src0_sel:WORD_1 src1_sel:DWORD
	v_mul_f16_sdwa v2, v19, v4 dst_sel:DWORD dst_unused:UNUSED_PAD src0_sel:WORD_1 src1_sel:DWORD
	v_fmac_f16_e32 v9, v20, v11
	v_mul_f16_sdwa v11, v23, v3 dst_sel:DWORD dst_unused:UNUSED_PAD src0_sel:WORD_1 src1_sel:DWORD
	v_mul_f16_sdwa v33, v23, v6 dst_sel:DWORD dst_unused:UNUSED_PAD src0_sel:WORD_1 src1_sel:DWORD
	v_fma_f16 v20, v17, v10, -v1
	v_fma_f16 v17, v19, v22, -v2
	ds_read2_b32 v[1:2], v97 offset1:96
	v_fma_f16 v36, v23, v6, -v11
	v_mul_f16_sdwa v8, v19, v22 dst_sel:DWORD dst_unused:UNUSED_PAD src0_sel:WORD_1 src1_sel:DWORD
	v_fmac_f16_e32 v33, v23, v3
	v_lshrrev_b32_e32 v3, 16, v42
	v_lshrrev_b32_e32 v6, 16, v44
	v_mul_f16_sdwa v21, v18, v44 dst_sel:DWORD dst_unused:UNUSED_PAD src0_sel:WORD_1 src1_sel:DWORD
	v_fmac_f16_e32 v8, v19, v4
	v_mul_f16_sdwa v4, v16, v42 dst_sel:DWORD dst_unused:UNUSED_PAD src0_sel:WORD_1 src1_sel:DWORD
	v_mul_f16_sdwa v11, v16, v3 dst_sel:DWORD dst_unused:UNUSED_PAD src0_sel:WORD_1 src1_sel:DWORD
	v_lshrrev_b32_e32 v10, 16, v43
	v_lshrrev_b32_e32 v23, 16, v5
	v_mul_f16_sdwa v22, v18, v6 dst_sel:DWORD dst_unused:UNUSED_PAD src0_sel:WORD_1 src1_sel:DWORD
	v_lshrrev_b32_e32 v109, 16, v45
	v_fma_f16 v19, v16, v3, -v4
	v_fma_f16 v21, v18, v6, -v21
	v_mul_f16_sdwa v3, v12, v10 dst_sel:DWORD dst_unused:UNUSED_PAD src0_sel:WORD_1 src1_sel:DWORD
	v_fmac_f16_e32 v11, v16, v42
	v_mul_f16_sdwa v4, v13, v23 dst_sel:DWORD dst_unused:UNUSED_PAD src0_sel:WORD_1 src1_sel:DWORD
	v_fmac_f16_e32 v22, v18, v44
	v_mul_f16_sdwa v6, v14, v109 dst_sel:DWORD dst_unused:UNUSED_PAD src0_sel:WORD_1 src1_sel:DWORD
	v_mul_f16_sdwa v16, v12, v43 dst_sel:DWORD dst_unused:UNUSED_PAD src0_sel:WORD_1 src1_sel:DWORD
	;; [unrolled: 1-line block ×3, first 2 shown]
	v_fmac_f16_e32 v3, v12, v43
	v_fmac_f16_e32 v4, v13, v5
	;; [unrolled: 1-line block ×3, first 2 shown]
	v_mul_f16_sdwa v42, v14, v45 dst_sel:DWORD dst_unused:UNUSED_PAD src0_sel:WORD_1 src1_sel:DWORD
	v_lshrrev_b32_e32 v43, 16, v47
	v_mul_f16_sdwa v45, v172, v47 dst_sel:DWORD dst_unused:UNUSED_PAD src0_sel:WORD_1 src1_sel:DWORD
	v_fma_f16 v5, v12, v10, -v16
	v_fma_f16 v12, v13, v23, -v18
	s_waitcnt lgkmcnt(0)
	v_lshrrev_b32_e32 v18, 16, v1
	v_mul_f16_sdwa v13, v172, v43 dst_sel:DWORD dst_unused:UNUSED_PAD src0_sel:WORD_1 src1_sel:DWORD
	v_fma_f16 v16, v172, v43, -v45
	v_add_f16_e32 v43, v48, v52
	v_fma_f16 v10, v14, v109, -v42
	v_add_f16_e32 v23, v18, v48
	v_fmac_f16_e32 v13, v172, v47
	v_add_f16_e32 v42, v50, v16
	v_add_f16_e32 v45, v1, v49
	v_sub_f16_e32 v47, v48, v52
	v_add_f16_e32 v48, v34, v50
	v_add_f16_e32 v23, v23, v52
	v_fmac_f16_e32 v18, -0.5, v43
	v_add_f16_e32 v43, v32, v51
	v_add_f16_e32 v52, v49, v108
	v_lshrrev_b32_e32 v44, 16, v46
	v_fmac_f16_e32 v34, -0.5, v42
	v_sub_f16_e32 v42, v51, v13
	v_add_f16_e32 v109, v51, v13
	v_add_f16_e32 v45, v45, v108
	v_fma_f16 v1, -0.5, v52, v1
	v_add_f16_e32 v52, v43, v13
	v_add_f16_e32 v48, v48, v16
	v_mul_f16_sdwa v14, v15, v46 dst_sel:DWORD dst_unused:UNUSED_PAD src0_sel:WORD_1 src1_sel:DWORD
	v_fmamk_f16 v51, v42, 0x3aee, v34
	v_fmac_f16_e32 v32, -0.5, v109
	v_sub_f16_e32 v50, v50, v16
	v_mul_f16_sdwa v111, v15, v44 dst_sel:DWORD dst_unused:UNUSED_PAD src0_sel:WORD_1 src1_sel:DWORD
	v_add_f16_e32 v13, v45, v52
	v_add_f16_e32 v16, v23, v48
	v_sub_f16_e32 v49, v49, v108
	v_mul_f16_e32 v108, 0xbaee, v51
	v_fmamk_f16 v109, v50, 0xbaee, v32
	v_mul_f16_e32 v51, 0.5, v51
	v_fma_f16 v44, v15, v44, -v14
	v_fmac_f16_e32 v111, v15, v46
	v_fmac_f16_e32 v34, 0xbaee, v42
	v_pack_b32_f16 v46, v13, v16
	ds_read2_b32 v[13:14], v89 offset0:64 offset1:160
	v_fmac_f16_e32 v108, 0.5, v109
	v_fmac_f16_e32 v51, 0x3aee, v109
	v_fmamk_f16 v109, v47, 0xbaee, v1
	v_fmamk_f16 v110, v49, 0x3aee, v18
	v_fmac_f16_e32 v32, 0x3aee, v50
	v_mul_f16_e32 v50, 0xbaee, v34
	v_mul_f16_e32 v34, -0.5, v34
	v_add_f16_e32 v43, v109, v108
	v_add_f16_e32 v112, v110, v51
	v_fmac_f16_e32 v1, 0x3aee, v47
	v_fmac_f16_e32 v18, 0xbaee, v49
	v_fmac_f16_e32 v50, -0.5, v32
	v_fmac_f16_e32 v34, 0x3aee, v32
	v_pack_b32_f16 v112, v43, v112
	ds_read2_b32 v[15:16], v105 offset0:64 offset1:160
	ds_read2_b32 v[42:43], v68 offset0:128 offset1:224
	v_add_f16_e32 v32, v1, v50
	v_add_f16_e32 v47, v18, v34
	s_waitcnt lgkmcnt(0)
	s_barrier
	buffer_gl0_inv
	ds_write2_b32 v131, v46, v112 offset1:60
	v_sub_f16_e32 v45, v45, v52
	v_sub_f16_e32 v23, v23, v48
	v_pack_b32_f16 v32, v32, v47
	v_sub_f16_e32 v46, v109, v108
	v_sub_f16_e32 v47, v110, v51
	v_lshrrev_b32_e32 v48, 16, v13
	v_mul_f16_sdwa v49, v120, v13 dst_sel:DWORD dst_unused:UNUSED_PAD src0_sel:WORD_1 src1_sel:DWORD
	v_sub_f16_e32 v18, v18, v34
	v_pack_b32_f16 v23, v45, v23
	v_pack_b32_f16 v34, v46, v47
	v_mul_f16_sdwa v45, v120, v48 dst_sel:DWORD dst_unused:UNUSED_PAD src0_sel:WORD_1 src1_sel:DWORD
	v_fma_f16 v46, v120, v48, -v49
	v_sub_f16_e32 v1, v1, v50
	v_add_f16_e32 v47, v28, v29
	v_add_f16_e32 v48, v2, v28
	v_fmac_f16_e32 v45, v120, v13
	v_add_f16_e32 v13, v39, v46
	v_pack_b32_f16 v1, v1, v18
	v_lshrrev_b32_e32 v18, 16, v2
	v_fmac_f16_e32 v2, -0.5, v47
	v_add_f16_e32 v47, v27, v39
	v_fmac_f16_e32 v27, -0.5, v13
	v_add_f16_e32 v13, v41, v45
	v_sub_f16_e32 v50, v41, v45
	v_add_f16_e32 v49, v18, v38
	v_add_f16_e32 v51, v38, v37
	v_add_f16_e32 v41, v31, v41
	v_fmac_f16_e32 v31, -0.5, v13
	v_fmamk_f16 v13, v50, 0x3aee, v27
	v_sub_f16_e32 v39, v39, v46
	v_sub_f16_e32 v38, v38, v37
	v_add_f16_e32 v37, v49, v37
	v_fmac_f16_e32 v18, -0.5, v51
	v_add_f16_e32 v41, v41, v45
	v_mul_f16_e32 v45, 0xbaee, v13
	v_fmamk_f16 v49, v39, 0xbaee, v31
	v_mul_f16_e32 v13, 0.5, v13
	v_sub_f16_e32 v28, v28, v29
	v_add_f16_e32 v48, v48, v29
	v_add_f16_e32 v29, v47, v46
	v_fmac_f16_e32 v45, 0.5, v49
	v_fmac_f16_e32 v13, 0x3aee, v49
	v_fmamk_f16 v47, v38, 0xbaee, v2
	v_fmac_f16_e32 v27, 0xbaee, v50
	v_fmamk_f16 v50, v28, 0x3aee, v18
	v_fmac_f16_e32 v2, 0x3aee, v38
	v_fmac_f16_e32 v31, 0x3aee, v39
	v_add_f16_e32 v39, v47, v45
	v_mul_f16_e32 v38, 0xbaee, v27
	v_mul_f16_e32 v27, -0.5, v27
	v_add_f16_e32 v51, v50, v13
	v_add_f16_e32 v46, v48, v41
	;; [unrolled: 1-line block ×3, first 2 shown]
	v_fmac_f16_e32 v38, -0.5, v31
	v_fmac_f16_e32 v27, 0x3aee, v31
	v_pack_b32_f16 v31, v39, v51
	v_sub_f16_e32 v39, v48, v41
	v_sub_f16_e32 v29, v37, v29
	v_fmac_f16_e32 v18, 0xbaee, v28
	v_pack_b32_f16 v28, v46, v49
	ds_write2_b32 v131, v32, v23 offset0:120 offset1:180
	ds_write2_b32 v137, v34, v1 offset0:112 offset1:172
	ds_write2_b32 v123, v28, v31 offset1:60
	v_pack_b32_f16 v23, v39, v29
	v_lshrrev_b32_e32 v29, 16, v14
	v_mul_f16_sdwa v31, v117, v14 dst_sel:DWORD dst_unused:UNUSED_PAD src0_sel:WORD_1 src1_sel:DWORD
	v_add_f16_e32 v41, v2, v38
	v_add_f16_e32 v46, v18, v27
	v_sub_f16_e32 v2, v2, v38
	v_mul_f16_sdwa v32, v117, v29 dst_sel:DWORD dst_unused:UNUSED_PAD src0_sel:WORD_1 src1_sel:DWORD
	v_fma_f16 v29, v117, v29, -v31
	v_sub_f16_e32 v28, v47, v45
	v_sub_f16_e32 v13, v50, v13
	;; [unrolled: 1-line block ×3, first 2 shown]
	v_lshrrev_b32_e32 v27, 16, v15
	v_fmac_f16_e32 v32, v117, v14
	v_add_f16_e32 v14, v26, v29
	v_pack_b32_f16 v13, v28, v13
	v_pack_b32_f16 v2, v2, v18
	v_add_f16_e32 v18, v27, v35
	v_add_f16_e32 v28, v35, v36
	v_sub_f16_e32 v31, v35, v36
	v_add_f16_e32 v34, v24, v26
	v_fmac_f16_e32 v24, -0.5, v14
	v_add_f16_e32 v14, v25, v32
	v_sub_f16_e32 v35, v25, v32
	v_add_f16_e32 v18, v18, v36
	v_fmac_f16_e32 v27, -0.5, v28
	v_add_f16_e32 v28, v15, v30
	v_add_f16_e32 v25, v9, v25
	v_fmac_f16_e32 v9, -0.5, v14
	v_fmamk_f16 v14, v35, 0x3aee, v24
	v_sub_f16_e32 v26, v26, v29
	v_add_f16_e32 v36, v30, v33
	v_fmac_f16_e32 v24, 0xbaee, v35
	v_add_f16_e32 v28, v28, v33
	v_sub_f16_e32 v30, v30, v33
	v_mul_f16_e32 v33, 0xbaee, v14
	v_fmamk_f16 v37, v26, 0xbaee, v9
	v_mul_f16_e32 v14, 0.5, v14
	v_fma_f16 v15, -0.5, v36, v15
	v_fmac_f16_e32 v9, 0x3aee, v26
	v_mul_f16_e32 v26, 0xbaee, v24
	v_mul_f16_e32 v24, -0.5, v24
	v_add_f16_e32 v25, v25, v32
	v_add_f16_e32 v29, v34, v29
	v_fmac_f16_e32 v33, 0.5, v37
	v_fmac_f16_e32 v14, 0x3aee, v37
	v_fmamk_f16 v32, v31, 0xbaee, v15
	v_fmamk_f16 v36, v30, 0x3aee, v27
	v_pack_b32_f16 v1, v41, v46
	v_fmac_f16_e32 v15, 0x3aee, v31
	v_fmac_f16_e32 v27, 0xbaee, v30
	v_fmac_f16_e32 v26, -0.5, v9
	v_fmac_f16_e32 v24, 0x3aee, v9
	v_add_f16_e32 v34, v28, v25
	v_add_f16_e32 v35, v18, v29
	;; [unrolled: 1-line block ×4, first 2 shown]
	ds_write2_b32 v123, v1, v23 offset0:120 offset1:180
	v_add_f16_e32 v1, v15, v26
	v_add_f16_e32 v23, v27, v24
	v_pack_b32_f16 v9, v34, v35
	v_pack_b32_f16 v30, v37, v38
	ds_write2_b32 v126, v13, v2 offset0:112 offset1:172
	ds_write2_b32 v133, v9, v30 offset1:60
	v_sub_f16_e32 v2, v28, v25
	v_sub_f16_e32 v9, v18, v29
	v_pack_b32_f16 v1, v1, v23
	v_sub_f16_e32 v13, v32, v33
	v_sub_f16_e32 v14, v36, v14
	v_lshrrev_b32_e32 v18, 16, v42
	v_mul_f16_sdwa v23, v115, v42 dst_sel:DWORD dst_unused:UNUSED_PAD src0_sel:WORD_1 src1_sel:DWORD
	v_sub_f16_e32 v15, v15, v26
	v_sub_f16_e32 v24, v27, v24
	v_pack_b32_f16 v2, v2, v9
	v_pack_b32_f16 v9, v13, v14
	v_mul_f16_sdwa v13, v115, v18 dst_sel:DWORD dst_unused:UNUSED_PAD src0_sel:WORD_1 src1_sel:DWORD
	v_fma_f16 v14, v115, v18, -v23
	v_pack_b32_f16 v15, v15, v24
	v_add_f16_e32 v18, v7, v8
	v_lshrrev_b32_e32 v23, 16, v16
	v_fmac_f16_e32 v13, v115, v42
	v_add_f16_e32 v24, v21, v14
	v_add_f16_e32 v26, v19, v21
	;; [unrolled: 1-line block ×3, first 2 shown]
	v_fmac_f16_e32 v16, -0.5, v18
	v_sub_f16_e32 v27, v22, v13
	v_fmac_f16_e32 v19, -0.5, v24
	v_add_f16_e32 v24, v22, v13
	v_add_f16_e32 v18, v23, v20
	;; [unrolled: 1-line block ×4, first 2 shown]
	v_sub_f16_e32 v21, v21, v14
	v_fmac_f16_e32 v11, -0.5, v24
	v_fmamk_f16 v24, v27, 0x3aee, v19
	v_sub_f16_e32 v20, v20, v17
	v_add_f16_e32 v17, v18, v17
	v_fmac_f16_e32 v23, -0.5, v28
	v_add_f16_e32 v18, v25, v8
	v_mul_f16_e32 v25, 0xbaee, v24
	v_fmamk_f16 v28, v21, 0xbaee, v11
	v_mul_f16_e32 v24, 0.5, v24
	v_sub_f16_e32 v7, v7, v8
	v_fmac_f16_e32 v19, 0xbaee, v27
	v_add_f16_e32 v8, v22, v13
	v_add_f16_e32 v13, v26, v14
	v_fmac_f16_e32 v25, 0.5, v28
	v_fmac_f16_e32 v24, 0x3aee, v28
	v_fmamk_f16 v14, v20, 0xbaee, v16
	v_fmamk_f16 v27, v7, 0x3aee, v23
	v_fmac_f16_e32 v11, 0x3aee, v21
	v_mul_f16_e32 v21, 0xbaee, v19
	v_mul_f16_e32 v19, -0.5, v19
	v_add_f16_e32 v22, v18, v8
	v_add_f16_e32 v26, v17, v13
	;; [unrolled: 1-line block ×4, first 2 shown]
	v_fmac_f16_e32 v16, 0x3aee, v20
	v_fmac_f16_e32 v23, 0xbaee, v7
	v_fmac_f16_e32 v21, -0.5, v11
	v_fmac_f16_e32 v19, 0x3aee, v11
	v_pack_b32_f16 v7, v22, v26
	v_pack_b32_f16 v11, v28, v29
	ds_write2_b32 v133, v1, v2 offset0:120 offset1:180
	v_add_f16_e32 v1, v16, v21
	v_add_f16_e32 v2, v23, v19
	ds_write2_b32 v134, v9, v15 offset0:112 offset1:172
	ds_write2_b32 v121, v7, v11 offset1:60
	v_sub_f16_e32 v7, v18, v8
	v_sub_f16_e32 v8, v17, v13
	;; [unrolled: 1-line block ×3, first 2 shown]
	v_pack_b32_f16 v1, v1, v2
	v_sub_f16_e32 v2, v16, v21
	v_sub_f16_e32 v11, v27, v24
	v_lshrrev_b32_e32 v13, 16, v43
	v_sub_f16_e32 v14, v23, v19
	v_pack_b32_f16 v7, v7, v8
	v_mul_f16_sdwa v8, v114, v43 dst_sel:DWORD dst_unused:UNUSED_PAD src0_sel:WORD_1 src1_sel:DWORD
	v_pack_b32_f16 v9, v9, v11
	v_mul_f16_sdwa v11, v114, v13 dst_sel:DWORD dst_unused:UNUSED_PAD src0_sel:WORD_1 src1_sel:DWORD
	v_pack_b32_f16 v2, v2, v14
	v_add_f16_e32 v14, v4, v111
	v_fma_f16 v8, v114, v13, -v8
	v_lshrrev_b32_e32 v13, 16, v0
	v_fmac_f16_e32 v11, v114, v43
	v_add_f16_e32 v15, v0, v4
	v_fmac_f16_e32 v0, -0.5, v14
	v_add_f16_e32 v14, v10, v8
	v_add_f16_e32 v16, v13, v12
	;; [unrolled: 1-line block ×3, first 2 shown]
	v_sub_f16_e32 v19, v6, v11
	v_add_f16_e32 v17, v12, v44
	v_fmac_f16_e32 v5, -0.5, v14
	v_add_f16_e32 v14, v6, v11
	v_add_f16_e32 v6, v3, v6
	;; [unrolled: 1-line block ×3, first 2 shown]
	v_sub_f16_e32 v10, v10, v8
	v_add_f16_e32 v15, v15, v111
	v_fmac_f16_e32 v3, -0.5, v14
	v_fmamk_f16 v14, v19, 0x3aee, v5
	v_add_f16_e32 v6, v6, v11
	v_add_f16_e32 v8, v18, v8
	v_fmac_f16_e32 v5, 0xbaee, v19
	v_sub_f16_e32 v12, v12, v44
	v_fmac_f16_e32 v13, -0.5, v17
	v_mul_f16_e32 v11, 0xbaee, v14
	v_fmamk_f16 v17, v10, 0xbaee, v3
	v_mul_f16_e32 v14, 0.5, v14
	v_add_f16_e32 v18, v15, v6
	v_add_f16_e32 v20, v16, v8
	v_sub_f16_e32 v4, v4, v111
	v_fmac_f16_e32 v3, 0x3aee, v10
	v_mul_f16_e32 v10, 0xbaee, v5
	v_mul_f16_e32 v5, -0.5, v5
	v_fmac_f16_e32 v11, 0.5, v17
	v_fmac_f16_e32 v14, 0x3aee, v17
	v_pack_b32_f16 v17, v18, v20
	v_fmamk_f16 v18, v12, 0xbaee, v0
	v_fmamk_f16 v19, v4, 0x3aee, v13
	v_fmac_f16_e32 v0, 0x3aee, v12
	v_fmac_f16_e32 v13, 0xbaee, v4
	v_fmac_f16_e32 v10, -0.5, v3
	v_fmac_f16_e32 v5, 0x3aee, v3
	v_add_f16_e32 v20, v18, v11
	v_add_f16_e32 v3, v19, v14
	v_sub_f16_e32 v4, v15, v6
	v_sub_f16_e32 v6, v16, v8
	v_add_f16_e32 v8, v0, v10
	v_add_f16_e32 v12, v13, v5
	v_sub_f16_e32 v0, v0, v10
	v_sub_f16_e32 v10, v18, v11
	;; [unrolled: 1-line block ×4, first 2 shown]
	v_pack_b32_f16 v3, v20, v3
	v_pack_b32_f16 v8, v8, v12
	;; [unrolled: 1-line block ×5, first 2 shown]
	ds_write2_b32 v121, v1, v7 offset0:120 offset1:180
	ds_write2_b32 v122, v9, v2 offset0:112 offset1:172
	ds_write2_b32 v124, v17, v3 offset1:60
	ds_write2_b32 v124, v8, v4 offset0:120 offset1:180
	ds_write2_b32 v125, v6, v0 offset0:112 offset1:172
	s_waitcnt lgkmcnt(0)
	s_barrier
	buffer_gl0_inv
	ds_read2_b32 v[0:1], v76 offset1:96
	ds_read2_b32 v[2:3], v99 offset0:64 offset1:160
	ds_read2_b32 v[4:5], v97 offset1:96
	s_waitcnt lgkmcnt(2)
	v_lshrrev_b32_e32 v6, 16, v0
	s_waitcnt lgkmcnt(1)
	v_lshrrev_b32_e32 v7, 16, v3
	v_mul_f16_sdwa v8, v119, v0 dst_sel:DWORD dst_unused:UNUSED_PAD src0_sel:WORD_1 src1_sel:DWORD
	v_mul_f16_sdwa v10, v118, v3 dst_sel:DWORD dst_unused:UNUSED_PAD src0_sel:WORD_1 src1_sel:DWORD
	;; [unrolled: 1-line block ×5, first 2 shown]
	v_fma_f16 v6, v119, v6, -v8
	v_lshrrev_b32_e32 v8, 16, v1
	v_fmac_f16_e32 v9, v119, v0
	v_fma_f16 v0, v118, v7, -v10
	v_fmac_f16_e32 v11, v118, v3
	s_waitcnt lgkmcnt(0)
	v_lshrrev_b32_e32 v3, 16, v4
	v_lshrrev_b32_e32 v10, 16, v5
	v_mul_f16_sdwa v26, v116, v8 dst_sel:DWORD dst_unused:UNUSED_PAD src0_sel:WORD_1 src1_sel:DWORD
	v_sub_f16_e32 v27, v5, v9
	v_sub_f16_e32 v11, v4, v11
	;; [unrolled: 1-line block ×4, first 2 shown]
	ds_read2_b32 v[6:7], v105 offset0:64 offset1:160
	v_fmac_f16_e32 v26, v116, v1
	v_fma_f16 v4, v4, 2.0, -v11
	v_fma_f16 v3, v3, 2.0, -v0
	v_pack_b32_f16 v31, v11, v0
	ds_read2_b32 v[0:1], v93 offset0:64 offset1:160
	v_fma_f16 v5, v5, 2.0, -v27
	v_fma_f16 v9, v10, 2.0, -v28
	v_fma_f16 v29, v116, v8, -v12
	v_pack_b32_f16 v30, v4, v3
	v_pack_b32_f16 v27, v27, v28
	;; [unrolled: 1-line block ×3, first 2 shown]
	ds_read2_b32 v[3:4], v82 offset0:128 offset1:224
	ds_read2_b32 v[8:9], v91 offset0:128 offset1:224
	;; [unrolled: 1-line block ×4, first 2 shown]
	ds_read2_b32 v[14:15], v104 offset1:96
	ds_read2_b32 v[16:17], v88 offset1:96
	ds_read2_b32 v[18:19], v79 offset0:64 offset1:160
	ds_read2_b32 v[20:21], v89 offset0:64 offset1:160
	;; [unrolled: 1-line block ×4, first 2 shown]
	s_waitcnt lgkmcnt(0)
	s_barrier
	buffer_gl0_inv
	ds_write_b32 v97, v31 offset:1440
	ds_write2_b32 v97, v30, v5 offset1:96
	v_lshrrev_b32_e32 v32, 16, v6
	v_sub_f16_e32 v26, v6, v26
	v_sub_f16_e32 v29, v32, v29
	v_lshrrev_b32_e32 v5, 16, v0
	v_lshrrev_b32_e32 v28, 16, v1
	v_fma_f16 v6, v6, 2.0, -v26
	v_lshrrev_b32_e32 v33, 16, v10
	v_fma_f16 v30, v32, 2.0, -v29
	v_mul_f16_sdwa v31, v155, v5 dst_sel:DWORD dst_unused:UNUSED_PAD src0_sel:WORD_1 src1_sel:DWORD
	v_mul_f16_sdwa v32, v155, v0 dst_sel:DWORD dst_unused:UNUSED_PAD src0_sel:WORD_1 src1_sel:DWORD
	v_pack_b32_f16 v26, v26, v29
	v_mul_f16_sdwa v29, v152, v28 dst_sel:DWORD dst_unused:UNUSED_PAD src0_sel:WORD_1 src1_sel:DWORD
	v_pack_b32_f16 v6, v6, v30
	v_fmac_f16_e32 v31, v155, v0
	v_fma_f16 v0, v155, v5, -v32
	v_lshrrev_b32_e32 v5, 16, v8
	v_mul_f16_sdwa v30, v152, v1 dst_sel:DWORD dst_unused:UNUSED_PAD src0_sel:WORD_1 src1_sel:DWORD
	v_fmac_f16_e32 v29, v152, v1
	v_sub_f16_e32 v1, v7, v31
	v_mul_f16_sdwa v31, v151, v8 dst_sel:DWORD dst_unused:UNUSED_PAD src0_sel:WORD_1 src1_sel:DWORD
	v_mul_f16_sdwa v32, v151, v5 dst_sel:DWORD dst_unused:UNUSED_PAD src0_sel:WORD_1 src1_sel:DWORD
	v_fma_f16 v28, v152, v28, -v30
	v_lshrrev_b32_e32 v30, 16, v7
	v_sub_f16_e32 v29, v3, v29
	v_fma_f16 v5, v151, v5, -v31
	v_fmac_f16_e32 v32, v151, v8
	v_lshrrev_b32_e32 v8, 16, v3
	v_lshrrev_b32_e32 v31, 16, v4
	v_sub_f16_e32 v0, v30, v0
	v_fma_f16 v7, v7, 2.0, -v1
	v_sub_f16_e32 v32, v4, v32
	v_sub_f16_e32 v28, v8, v28
	;; [unrolled: 1-line block ×3, first 2 shown]
	v_fma_f16 v30, v30, 2.0, -v0
	v_fma_f16 v3, v3, 2.0, -v29
	;; [unrolled: 1-line block ×5, first 2 shown]
	ds_write_b32 v97, v6 offset:768
	v_pack_b32_f16 v6, v7, v30
	v_pack_b32_f16 v0, v1, v0
	;; [unrolled: 1-line block ×4, first 2 shown]
	v_lshrrev_b32_e32 v4, 16, v9
	ds_write2_b32 v165, v27, v26 offset0:72 offset1:168
	ds_write_b32 v166, v6
	ds_write_b32 v166, v0 offset:1440
	ds_write2_b32 v107, v1, v3 offset0:104 offset1:200
	v_lshrrev_b32_e32 v1, 16, v12
	v_mul_f16_sdwa v3, v143, v9 dst_sel:DWORD dst_unused:UNUSED_PAD src0_sel:WORD_1 src1_sel:DWORD
	v_mul_f16_sdwa v6, v141, v12 dst_sel:DWORD dst_unused:UNUSED_PAD src0_sel:WORD_1 src1_sel:DWORD
	v_lshrrev_b32_e32 v7, 16, v13
	v_mul_f16_sdwa v0, v143, v4 dst_sel:DWORD dst_unused:UNUSED_PAD src0_sel:WORD_1 src1_sel:DWORD
	v_mul_f16_sdwa v8, v141, v1 dst_sel:DWORD dst_unused:UNUSED_PAD src0_sel:WORD_1 src1_sel:DWORD
	v_fma_f16 v3, v143, v4, -v3
	v_fma_f16 v1, v141, v1, -v6
	v_mul_f16_sdwa v4, v145, v7 dst_sel:DWORD dst_unused:UNUSED_PAD src0_sel:WORD_1 src1_sel:DWORD
	v_lshrrev_b32_e32 v6, 16, v16
	v_fmac_f16_e32 v0, v143, v9
	v_mul_f16_sdwa v9, v145, v13 dst_sel:DWORD dst_unused:UNUSED_PAD src0_sel:WORD_1 src1_sel:DWORD
	v_fmac_f16_e32 v8, v141, v12
	v_fmac_f16_e32 v4, v145, v13
	v_mul_f16_sdwa v13, v148, v6 dst_sel:DWORD dst_unused:UNUSED_PAD src0_sel:WORD_1 src1_sel:DWORD
	v_mul_f16_sdwa v12, v148, v16 dst_sel:DWORD dst_unused:UNUSED_PAD src0_sel:WORD_1 src1_sel:DWORD
	v_lshrrev_b32_e32 v26, 16, v17
	v_fma_f16 v7, v145, v7, -v9
	v_lshrrev_b32_e32 v9, 16, v20
	v_fmac_f16_e32 v13, v148, v16
	v_mul_f16_sdwa v16, v144, v17 dst_sel:DWORD dst_unused:UNUSED_PAD src0_sel:WORD_1 src1_sel:DWORD
	v_mul_f16_sdwa v27, v146, v20 dst_sel:DWORD dst_unused:UNUSED_PAD src0_sel:WORD_1 src1_sel:DWORD
	v_fma_f16 v6, v148, v6, -v12
	v_mul_f16_sdwa v12, v144, v26 dst_sel:DWORD dst_unused:UNUSED_PAD src0_sel:WORD_1 src1_sel:DWORD
	v_mul_f16_sdwa v30, v146, v9 dst_sel:DWORD dst_unused:UNUSED_PAD src0_sel:WORD_1 src1_sel:DWORD
	v_fma_f16 v16, v144, v26, -v16
	v_fma_f16 v9, v146, v9, -v27
	v_lshrrev_b32_e32 v26, 16, v24
	v_mul_f16_sdwa v27, v139, v24 dst_sel:DWORD dst_unused:UNUSED_PAD src0_sel:WORD_1 src1_sel:DWORD
	v_sub_f16_e32 v3, v33, v3
	v_sub_f16_e32 v0, v10, v0
	v_pack_b32_f16 v5, v32, v5
	v_sub_f16_e32 v8, v11, v8
	v_fma_f16 v27, v139, v26, -v27
	v_mul_f16_sdwa v26, v139, v26 dst_sel:DWORD dst_unused:UNUSED_PAD src0_sel:WORD_1 src1_sel:DWORD
	v_fma_f16 v33, v33, 2.0, -v3
	v_fma_f16 v10, v10, 2.0, -v0
	v_pack_b32_f16 v0, v0, v3
	v_lshrrev_b32_e32 v3, 16, v11
	v_fmac_f16_e32 v26, v139, v24
	v_pack_b32_f16 v24, v29, v28
	v_pack_b32_f16 v10, v10, v33
	ds_write2_b32 v106, v5, v0 offset0:48 offset1:144
	v_sub_f16_e32 v0, v3, v1
	v_lshrrev_b32_e32 v5, 16, v15
	v_sub_f16_e32 v4, v14, v4
	ds_write2_b32 v79, v10, v24 offset0:40 offset1:208
	v_lshrrev_b32_e32 v10, 16, v14
	v_fma_f16 v1, v11, 2.0, -v8
	v_fma_f16 v3, v3, 2.0, -v0
	v_sub_f16_e32 v11, v15, v13
	v_sub_f16_e32 v6, v5, v6
	;; [unrolled: 1-line block ×3, first 2 shown]
	v_fma_f16 v13, v14, 2.0, -v4
	v_pack_b32_f16 v1, v1, v3
	v_pack_b32_f16 v0, v8, v0
	v_fma_f16 v3, v15, 2.0, -v11
	v_fma_f16 v10, v10, 2.0, -v7
	;; [unrolled: 1-line block ×3, first 2 shown]
	v_lshrrev_b32_e32 v31, 16, v21
	ds_write_b32 v164, v1
	v_pack_b32_f16 v1, v4, v7
	v_pack_b32_f16 v8, v13, v10
	ds_write_b32 v164, v0 offset:1440
	ds_write_b32 v136, v8 offset:5760
	v_pack_b32_f16 v0, v11, v6
	v_pack_b32_f16 v3, v3, v5
	v_fmac_f16_e32 v12, v144, v17
	v_mul_f16_sdwa v17, v142, v31 dst_sel:DWORD dst_unused:UNUSED_PAD src0_sel:WORD_1 src1_sel:DWORD
	v_fmac_f16_e32 v30, v146, v20
	v_mul_f16_sdwa v20, v142, v21 dst_sel:DWORD dst_unused:UNUSED_PAD src0_sel:WORD_1 src1_sel:DWORD
	ds_write_b32 v136, v1 offset:7200
	ds_write_b32 v135, v3 offset:5760
	;; [unrolled: 1-line block ×3, first 2 shown]
	v_lshrrev_b32_e32 v0, 16, v18
	v_fmac_f16_e32 v17, v142, v21
	v_lshrrev_b32_e32 v21, 16, v25
	v_fma_f16 v20, v142, v31, -v20
	v_sub_f16_e32 v1, v18, v12
	v_lshrrev_b32_e32 v4, 16, v19
	v_lshrrev_b32_e32 v10, 16, v22
	v_sub_f16_e32 v11, v0, v16
	v_mul_f16_sdwa v31, v138, v21 dst_sel:DWORD dst_unused:UNUSED_PAD src0_sel:WORD_1 src1_sel:DWORD
	v_mul_f16_sdwa v34, v138, v25 dst_sel:DWORD dst_unused:UNUSED_PAD src0_sel:WORD_1 src1_sel:DWORD
	v_sub_f16_e32 v3, v19, v30
	v_fma_f16 v5, v18, 2.0, -v1
	v_sub_f16_e32 v7, v22, v17
	v_lshrrev_b32_e32 v12, 16, v23
	v_fma_f16 v0, v0, 2.0, -v11
	v_sub_f16_e32 v9, v4, v9
	v_sub_f16_e32 v17, v10, v20
	v_fmac_f16_e32 v31, v138, v25
	v_fma_f16 v21, v138, v21, -v34
	v_lshrrev_b32_e32 v16, 16, v2
	v_fma_f16 v6, v19, 2.0, -v3
	v_sub_f16_e32 v8, v23, v26
	v_pack_b32_f16 v0, v5, v0
	v_fma_f16 v4, v4, 2.0, -v9
	v_fma_f16 v5, v10, 2.0, -v17
	v_sub_f16_e32 v10, v12, v27
	v_sub_f16_e32 v15, v2, v31
	v_pack_b32_f16 v1, v1, v11
	v_sub_f16_e32 v11, v16, v21
	v_fma_f16 v13, v22, 2.0, -v7
	v_fma_f16 v14, v23, 2.0, -v8
	v_pack_b32_f16 v4, v6, v4
	v_fma_f16 v6, v12, 2.0, -v10
	v_fma_f16 v2, v2, 2.0, -v15
	v_pack_b32_f16 v3, v3, v9
	v_fma_f16 v9, v16, 2.0, -v11
	v_pack_b32_f16 v5, v13, v5
	ds_write_b32 v130, v0 offset:5760
	ds_write_b32 v130, v1 offset:7200
	ds_write_b32 v157, v4
	ds_write_b32 v157, v3 offset:1440
	ds_write_b32 v128, v5 offset:8640
	v_pack_b32_f16 v0, v7, v17
	v_pack_b32_f16 v1, v14, v6
	;; [unrolled: 1-line block ×5, first 2 shown]
	ds_write_b32 v128, v0 offset:10080
	ds_write_b32 v129, v1 offset:8640
	;; [unrolled: 1-line block ×5, first 2 shown]
	s_waitcnt lgkmcnt(0)
	s_barrier
	buffer_gl0_inv
	ds_read2_b32 v[0:1], v76 offset1:96
	ds_read2_b32 v[2:3], v93 offset0:64 offset1:160
	ds_read2_b32 v[4:5], v91 offset0:128 offset1:224
	;; [unrolled: 1-line block ×3, first 2 shown]
	ds_read2_b32 v[8:9], v88 offset1:96
	s_waitcnt lgkmcnt(4)
	v_lshrrev_b32_e32 v10, 16, v0
	v_lshrrev_b32_e32 v11, 16, v1
	s_waitcnt lgkmcnt(3)
	v_lshrrev_b32_e32 v12, 16, v2
	v_mul_f16_sdwa v15, v147, v0 dst_sel:DWORD dst_unused:UNUSED_PAD src0_sel:WORD_1 src1_sel:DWORD
	v_lshrrev_b32_e32 v13, 16, v3
	v_mul_f16_sdwa v17, v147, v10 dst_sel:DWORD dst_unused:UNUSED_PAD src0_sel:WORD_1 src1_sel:DWORD
	v_mul_f16_sdwa v19, v150, v11 dst_sel:DWORD dst_unused:UNUSED_PAD src0_sel:WORD_1 src1_sel:DWORD
	v_mul_f16_sdwa v21, v153, v12 dst_sel:DWORD dst_unused:UNUSED_PAD src0_sel:WORD_1 src1_sel:DWORD
	s_waitcnt lgkmcnt(2)
	v_lshrrev_b32_e32 v14, 16, v4
	v_lshrrev_b32_e32 v16, 16, v5
	v_fmac_f16_e32 v17, v147, v0
	v_mul_f16_sdwa v0, v153, v2 dst_sel:DWORD dst_unused:UNUSED_PAD src0_sel:WORD_1 src1_sel:DWORD
	v_fma_f16 v10, v147, v10, -v15
	v_mul_f16_sdwa v15, v150, v1 dst_sel:DWORD dst_unused:UNUSED_PAD src0_sel:WORD_1 src1_sel:DWORD
	v_fmac_f16_e32 v19, v150, v1
	v_mul_f16_sdwa v22, v171, v13 dst_sel:DWORD dst_unused:UNUSED_PAD src0_sel:WORD_1 src1_sel:DWORD
	v_fma_f16 v23, v153, v12, -v0
	v_mul_f16_sdwa v0, v171, v3 dst_sel:DWORD dst_unused:UNUSED_PAD src0_sel:WORD_1 src1_sel:DWORD
	v_fmac_f16_e32 v21, v153, v2
	v_mul_f16_sdwa v2, v170, v4 dst_sel:DWORD dst_unused:UNUSED_PAD src0_sel:WORD_1 src1_sel:DWORD
	s_waitcnt lgkmcnt(1)
	v_lshrrev_b32_e32 v18, 16, v6
	v_fmac_f16_e32 v22, v171, v3
	v_fma_f16 v13, v171, v13, -v0
	ds_read2_b32 v[0:1], v89 offset0:64 offset1:160
	v_mul_f16_sdwa v24, v170, v14 dst_sel:DWORD dst_unused:UNUSED_PAD src0_sel:WORD_1 src1_sel:DWORD
	v_mul_f16_sdwa v25, v167, v16 dst_sel:DWORD dst_unused:UNUSED_PAD src0_sel:WORD_1 src1_sel:DWORD
	v_fma_f16 v14, v170, v14, -v2
	v_mul_f16_sdwa v2, v167, v5 dst_sel:DWORD dst_unused:UNUSED_PAD src0_sel:WORD_1 src1_sel:DWORD
	v_mul_f16_sdwa v3, v168, v6 dst_sel:DWORD dst_unused:UNUSED_PAD src0_sel:WORD_1 src1_sel:DWORD
	v_lshrrev_b32_e32 v20, 16, v7
	v_fma_f16 v15, v150, v11, -v15
	s_waitcnt lgkmcnt(1)
	v_lshrrev_b32_e32 v11, 16, v8
	v_fmac_f16_e32 v24, v170, v4
	v_fmac_f16_e32 v25, v167, v5
	v_mul_f16_sdwa v26, v168, v18 dst_sel:DWORD dst_unused:UNUSED_PAD src0_sel:WORD_1 src1_sel:DWORD
	v_fma_f16 v16, v167, v16, -v2
	v_fma_f16 v18, v168, v18, -v3
	ds_read2_b32 v[2:3], v68 offset0:128 offset1:224
	ds_read2_b32 v[4:5], v99 offset0:64 offset1:160
	v_lshrrev_b32_e32 v12, 16, v9
	v_mul_f16_sdwa v27, v163, v20 dst_sel:DWORD dst_unused:UNUSED_PAD src0_sel:WORD_1 src1_sel:DWORD
	v_mul_f16_sdwa v28, v163, v7 dst_sel:DWORD dst_unused:UNUSED_PAD src0_sel:WORD_1 src1_sel:DWORD
	v_fmac_f16_e32 v26, v168, v6
	v_mul_f16_sdwa v29, v162, v11 dst_sel:DWORD dst_unused:UNUSED_PAD src0_sel:WORD_1 src1_sel:DWORD
	v_mul_f16_sdwa v6, v162, v8 dst_sel:DWORD dst_unused:UNUSED_PAD src0_sel:WORD_1 src1_sel:DWORD
	v_fmac_f16_e32 v27, v163, v7
	v_mul_f16_sdwa v30, v160, v12 dst_sel:DWORD dst_unused:UNUSED_PAD src0_sel:WORD_1 src1_sel:DWORD
	v_fma_f16 v20, v163, v20, -v28
	s_waitcnt lgkmcnt(2)
	v_lshrrev_b32_e32 v28, 16, v0
	v_fmac_f16_e32 v29, v162, v8
	v_fma_f16 v31, v162, v11, -v6
	v_lshrrev_b32_e32 v8, 16, v1
	ds_read2_b32 v[6:7], v97 offset1:96
	v_fmac_f16_e32 v30, v160, v9
	v_mul_f16_sdwa v9, v160, v9 dst_sel:DWORD dst_unused:UNUSED_PAD src0_sel:WORD_1 src1_sel:DWORD
	v_mul_f16_sdwa v32, v158, v28 dst_sel:DWORD dst_unused:UNUSED_PAD src0_sel:WORD_1 src1_sel:DWORD
	;; [unrolled: 1-line block ×4, first 2 shown]
	v_fma_f16 v34, v160, v12, -v9
	v_fmac_f16_e32 v32, v158, v0
	v_mul_f16_sdwa v0, v159, v1 dst_sel:DWORD dst_unused:UNUSED_PAD src0_sel:WORD_1 src1_sel:DWORD
	v_fmac_f16_e32 v33, v159, v1
	s_waitcnt lgkmcnt(1)
	v_lshrrev_b32_e32 v1, 16, v5
	v_lshrrev_b32_e32 v9, 16, v2
	v_fma_f16 v28, v158, v28, -v11
	v_fma_f16 v35, v159, v8, -v0
	v_mul_f16_sdwa v0, v156, v2 dst_sel:DWORD dst_unused:UNUSED_PAD src0_sel:WORD_1 src1_sel:DWORD
	v_mul_f16_sdwa v11, v132, v1 dst_sel:DWORD dst_unused:UNUSED_PAD src0_sel:WORD_1 src1_sel:DWORD
	;; [unrolled: 1-line block ×4, first 2 shown]
	v_lshrrev_b32_e32 v8, 16, v3
	v_fma_f16 v37, v156, v9, -v0
	v_fmac_f16_e32 v11, v132, v5
	v_fma_f16 v5, v132, v1, -v12
	s_waitcnt lgkmcnt(0)
	v_lshrrev_b32_e32 v9, 16, v6
	v_fmac_f16_e32 v36, v156, v2
	v_lshrrev_b32_e32 v2, 16, v7
	ds_read2_b32 v[0:1], v105 offset0:64 offset1:160
	v_sub_f16_e32 v11, v6, v11
	v_sub_f16_e32 v5, v9, v5
	;; [unrolled: 1-line block ×4, first 2 shown]
	v_mul_f16_sdwa v38, v140, v8 dst_sel:DWORD dst_unused:UNUSED_PAD src0_sel:WORD_1 src1_sel:DWORD
	v_mul_f16_sdwa v10, v140, v3 dst_sel:DWORD dst_unused:UNUSED_PAD src0_sel:WORD_1 src1_sel:DWORD
	v_fma_f16 v6, v6, 2.0, -v11
	v_fma_f16 v9, v9, 2.0, -v5
	;; [unrolled: 1-line block ×4, first 2 shown]
	v_fmac_f16_e32 v38, v140, v3
	v_fma_f16 v41, v140, v8, -v10
	v_pack_b32_f16 v42, v6, v9
	v_pack_b32_f16 v43, v11, v5
	;; [unrolled: 1-line block ×3, first 2 shown]
	ds_read2_b32 v[2:3], v82 offset0:128 offset1:224
	ds_read2_b32 v[5:6], v103 offset0:64 offset1:160
	ds_read2_b32 v[7:8], v104 offset1:96
	ds_read2_b32 v[9:10], v79 offset0:64 offset1:160
	ds_read2_b32 v[11:12], v98 offset0:128 offset1:224
	s_waitcnt lgkmcnt(0)
	s_barrier
	buffer_gl0_inv
	v_lshrrev_b32_e32 v45, 16, v0
	v_lshrrev_b32_e32 v46, 16, v1
	v_sub_f16_e32 v19, v0, v19
	v_sub_f16_e32 v21, v1, v21
	ds_write_b32 v97, v43 offset:2880
	v_sub_f16_e32 v15, v45, v15
	v_sub_f16_e32 v23, v46, v23
	v_pack_b32_f16 v17, v17, v39
	v_fma_f16 v0, v0, 2.0, -v19
	v_fma_f16 v1, v1, 2.0, -v21
	;; [unrolled: 1-line block ×4, first 2 shown]
	v_pack_b32_f16 v15, v19, v15
	v_lshrrev_b32_e32 v19, 16, v2
	ds_write2_b32 v97, v42, v44 offset1:96
	v_pack_b32_f16 v0, v0, v39
	v_pack_b32_f16 v1, v1, v43
	ds_write2_b32 v104, v17, v15 offset0:48 offset1:144
	v_sub_f16_e32 v15, v2, v22
	v_lshrrev_b32_e32 v17, 16, v3
	v_sub_f16_e32 v13, v19, v13
	ds_write2_b32 v105, v0, v1 offset0:64 offset1:160
	v_pack_b32_f16 v0, v21, v23
	v_sub_f16_e32 v1, v3, v24
	v_sub_f16_e32 v14, v17, v14
	v_pack_b32_f16 v21, v15, v13
	v_fma_f16 v13, v19, 2.0, -v13
	v_fma_f16 v2, v2, 2.0, -v15
	;; [unrolled: 1-line block ×4, first 2 shown]
	ds_write2_b32 v79, v0, v21 offset0:112 offset1:208
	v_lshrrev_b32_e32 v0, 16, v5
	v_pack_b32_f16 v2, v2, v13
	v_lshrrev_b32_e32 v13, 16, v6
	v_pack_b32_f16 v3, v3, v15
	v_sub_f16_e32 v17, v5, v25
	v_sub_f16_e32 v16, v0, v16
	;; [unrolled: 1-line block ×4, first 2 shown]
	ds_write2_b32 v82, v2, v3 offset0:128 offset1:224
	v_fma_f16 v3, v5, 2.0, -v17
	v_fma_f16 v0, v0, 2.0, -v16
	v_lshrrev_b32_e32 v15, 16, v7
	v_lshrrev_b32_e32 v2, 16, v8
	;; [unrolled: 1-line block ×3, first 2 shown]
	v_fma_f16 v6, v6, 2.0, -v19
	v_pack_b32_f16 v0, v3, v0
	v_fma_f16 v3, v13, 2.0, -v18
	v_sub_f16_e32 v21, v7, v27
	v_sub_f16_e32 v5, v8, v29
	v_lshrrev_b32_e32 v25, 16, v10
	v_pack_b32_f16 v1, v1, v14
	v_pack_b32_f16 v13, v17, v16
	v_sub_f16_e32 v14, v15, v20
	v_sub_f16_e32 v16, v2, v31
	;; [unrolled: 1-line block ×4, first 2 shown]
	v_lshrrev_b32_e32 v29, 16, v11
	v_lshrrev_b32_e32 v30, 16, v12
	v_pack_b32_f16 v3, v6, v3
	v_lshrrev_b32_e32 v6, 16, v4
	v_fma_f16 v7, v7, 2.0, -v21
	v_sub_f16_e32 v23, v10, v32
	v_fma_f16 v8, v8, 2.0, -v5
	v_fma_f16 v15, v15, 2.0, -v14
	;; [unrolled: 1-line block ×4, first 2 shown]
	v_sub_f16_e32 v24, v25, v28
	v_sub_f16_e32 v26, v11, v33
	;; [unrolled: 1-line block ×7, first 2 shown]
	v_fma_f16 v9, v9, 2.0, -v22
	v_fma_f16 v10, v10, 2.0, -v23
	;; [unrolled: 1-line block ×3, first 2 shown]
	ds_write_b32 v97, v0 offset:2304
	ds_write2_b32 v106, v1, v13 offset0:48 offset1:144
	ds_write_b32 v149, v3
	v_pack_b32_f16 v0, v19, v18
	v_pack_b32_f16 v1, v7, v15
	v_pack_b32_f16 v2, v8, v2
	v_pack_b32_f16 v3, v5, v16
	v_pack_b32_f16 v5, v22, v17
	v_fma_f16 v11, v11, 2.0, -v26
	v_fma_f16 v12, v12, 2.0, -v27
	;; [unrolled: 1-line block ×6, first 2 shown]
	ds_write_b32 v149, v0 offset:2880
	ds_write2_b32 v161, v1, v2 offset0:80 offset1:176
	v_pack_b32_f16 v1, v9, v20
	v_pack_b32_f16 v2, v10, v25
	ds_write2_b32 v88, v3, v5 offset1:96
	v_pack_b32_f16 v3, v23, v24
	v_pack_b32_f16 v7, v26, v28
	;; [unrolled: 1-line block ×8, first 2 shown]
	ds_write2_b32 v76, v1, v2 offset0:144 offset1:240
	ds_write2_b32 v89, v3, v7 offset0:64 offset1:160
	ds_write2_b32 v91, v5, v8 offset0:80 offset1:176
	ds_write2_b32 v71, v4, v0 offset0:16 offset1:160
	ds_write2_b32 v68, v9, v6 offset0:128 offset1:224
	s_waitcnt lgkmcnt(0)
	s_barrier
	buffer_gl0_inv
	ds_read2_b32 v[0:1], v97 offset1:96
	ds_read2_b32 v[2:3], v99 offset0:64 offset1:160
	ds_read2_b32 v[4:5], v76 offset1:96
	ds_read2_b32 v[6:7], v105 offset0:64 offset1:160
	ds_read2_b32 v[8:9], v93 offset0:64 offset1:160
	;; [unrolled: 1-line block ×4, first 2 shown]
	ds_read2_b32 v[18:19], v88 offset1:96
	ds_read2_b32 v[14:15], v82 offset0:128 offset1:224
	ds_read2_b32 v[16:17], v103 offset0:64 offset1:160
	ds_read2_b32 v[20:21], v104 offset1:96
	s_waitcnt lgkmcnt(10)
	v_lshrrev_b32_e32 v22, 16, v0
	s_waitcnt lgkmcnt(9)
	v_lshrrev_b32_e32 v23, 16, v3
	;; [unrolled: 2-line block ×3, first 2 shown]
	v_mul_f16_sdwa v34, v169, v4 dst_sel:DWORD dst_unused:UNUSED_PAD src0_sel:WORD_1 src1_sel:DWORD
	v_lshrrev_b32_e32 v27, 16, v5
	s_waitcnt lgkmcnt(6)
	v_lshrrev_b32_e32 v29, 16, v8
	v_lshrrev_b32_e32 v30, 16, v9
	v_mul_f16_sdwa v35, v169, v25 dst_sel:DWORD dst_unused:UNUSED_PAD src0_sel:WORD_1 src1_sel:DWORD
	v_fma_f16 v25, v169, v25, -v34
	v_mul_f16_sdwa v34, v174, v5 dst_sel:DWORD dst_unused:UNUSED_PAD src0_sel:WORD_1 src1_sel:DWORD
	s_waitcnt lgkmcnt(5)
	v_lshrrev_b32_e32 v31, 16, v10
	v_lshrrev_b32_e32 v32, 16, v11
	v_mul_f16_sdwa v36, v174, v27 dst_sel:DWORD dst_unused:UNUSED_PAD src0_sel:WORD_1 src1_sel:DWORD
	v_mul_f16_sdwa v38, v175, v29 dst_sel:DWORD dst_unused:UNUSED_PAD src0_sel:WORD_1 src1_sel:DWORD
	;; [unrolled: 1-line block ×3, first 2 shown]
	v_fma_f16 v27, v174, v27, -v34
	v_mul_f16_sdwa v34, v176, v30 dst_sel:DWORD dst_unused:UNUSED_PAD src0_sel:WORD_1 src1_sel:DWORD
	s_waitcnt lgkmcnt(4)
	v_lshrrev_b32_e32 v33, 16, v12
	v_lshrrev_b32_e32 v37, 16, v13
	v_fmac_f16_e32 v38, v175, v8
	v_fma_f16 v29, v175, v29, -v39
	v_mul_f16_sdwa v8, v176, v9 dst_sel:DWORD dst_unused:UNUSED_PAD src0_sel:WORD_1 src1_sel:DWORD
	v_fmac_f16_e32 v34, v176, v9
	v_mul_f16_sdwa v39, v177, v31 dst_sel:DWORD dst_unused:UNUSED_PAD src0_sel:WORD_1 src1_sel:DWORD
	v_mul_f16_sdwa v9, v177, v10 dst_sel:DWORD dst_unused:UNUSED_PAD src0_sel:WORD_1 src1_sel:DWORD
	v_mul_f16_sdwa v42, v178, v32 dst_sel:DWORD dst_unused:UNUSED_PAD src0_sel:WORD_1 src1_sel:DWORD
	s_waitcnt lgkmcnt(3)
	v_lshrrev_b32_e32 v41, 16, v18
	v_mul_f16_sdwa v43, v179, v12 dst_sel:DWORD dst_unused:UNUSED_PAD src0_sel:WORD_1 src1_sel:DWORD
	v_fmac_f16_e32 v39, v177, v10
	v_fma_f16 v10, v177, v31, -v9
	v_mul_f16_sdwa v31, v178, v11 dst_sel:DWORD dst_unused:UNUSED_PAD src0_sel:WORD_1 src1_sel:DWORD
	v_fmac_f16_e32 v42, v178, v11
	v_mul_f16_sdwa v11, v179, v33 dst_sel:DWORD dst_unused:UNUSED_PAD src0_sel:WORD_1 src1_sel:DWORD
	v_mul_f16_sdwa v44, v180, v37 dst_sel:DWORD dst_unused:UNUSED_PAD src0_sel:WORD_1 src1_sel:DWORD
	v_fmac_f16_e32 v35, v169, v4
	v_fmac_f16_e32 v36, v174, v5
	ds_read2_b32 v[4:5], v89 offset0:64 offset1:160
	v_fmac_f16_e32 v11, v179, v12
	v_fma_f16 v12, v179, v33, -v43
	v_mul_f16_sdwa v33, v180, v13 dst_sel:DWORD dst_unused:UNUSED_PAD src0_sel:WORD_1 src1_sel:DWORD
	v_fmac_f16_e32 v44, v180, v13
	v_mul_f16_sdwa v13, v181, v41 dst_sel:DWORD dst_unused:UNUSED_PAD src0_sel:WORD_1 src1_sel:DWORD
	v_mul_f16_sdwa v45, v181, v18 dst_sel:DWORD dst_unused:UNUSED_PAD src0_sel:WORD_1 src1_sel:DWORD
	v_fma_f16 v31, v178, v32, -v31
	v_lshrrev_b32_e32 v32, 16, v19
	v_fma_f16 v33, v180, v37, -v33
	v_fmac_f16_e32 v13, v181, v18
	v_fma_f16 v18, v181, v41, -v45
	v_mul_f16_sdwa v41, v183, v19 dst_sel:DWORD dst_unused:UNUSED_PAD src0_sel:WORD_1 src1_sel:DWORD
	v_mul_f16_sdwa v37, v183, v32 dst_sel:DWORD dst_unused:UNUSED_PAD src0_sel:WORD_1 src1_sel:DWORD
	v_fma_f16 v30, v176, v30, -v8
	ds_read2_b32 v[8:9], v68 offset0:128 offset1:224
	v_lshrrev_b32_e32 v24, 16, v1
	v_fma_f16 v32, v183, v32, -v41
	v_mul_f16_sdwa v41, v154, v3 dst_sel:DWORD dst_unused:UNUSED_PAD src0_sel:WORD_1 src1_sel:DWORD
	v_fmac_f16_e32 v37, v183, v19
	s_waitcnt lgkmcnt(1)
	v_lshrrev_b32_e32 v43, 16, v4
	v_lshrrev_b32_e32 v46, 16, v5
	v_mul_f16_sdwa v45, v184, v4 dst_sel:DWORD dst_unused:UNUSED_PAD src0_sel:WORD_1 src1_sel:DWORD
	v_fma_f16 v41, v154, v23, -v41
	v_mul_f16_sdwa v23, v154, v23 dst_sel:DWORD dst_unused:UNUSED_PAD src0_sel:WORD_1 src1_sel:DWORD
	v_mul_f16_sdwa v19, v184, v43 dst_sel:DWORD dst_unused:UNUSED_PAD src0_sel:WORD_1 src1_sel:DWORD
	v_sub_f16_e32 v35, v1, v35
	v_sub_f16_e32 v25, v24, v25
	;; [unrolled: 1-line block ×3, first 2 shown]
	v_fmac_f16_e32 v23, v154, v3
	v_fmac_f16_e32 v19, v184, v4
	v_fma_f16 v43, v184, v43, -v45
	v_mul_f16_sdwa v45, v185, v46 dst_sel:DWORD dst_unused:UNUSED_PAD src0_sel:WORD_1 src1_sel:DWORD
	v_mul_f16_sdwa v4, v185, v5 dst_sel:DWORD dst_unused:UNUSED_PAD src0_sel:WORD_1 src1_sel:DWORD
	v_sub_f16_e32 v23, v0, v23
	v_fma_f16 v22, v22, 2.0, -v41
	v_fma_f16 v1, v1, 2.0, -v35
	;; [unrolled: 1-line block ×3, first 2 shown]
	v_fmac_f16_e32 v45, v185, v5
	v_fma_f16 v0, v0, 2.0, -v23
	v_fma_f16 v46, v185, v46, -v4
	ds_read2_b32 v[4:5], v79 offset0:64 offset1:160
	s_waitcnt lgkmcnt(1)
	v_lshrrev_b32_e32 v47, 16, v8
	v_pack_b32_f16 v24, v1, v24
	v_pack_b32_f16 v22, v0, v22
	ds_read2_b32 v[0:1], v98 offset0:128 offset1:224
	v_lshrrev_b32_e32 v48, 16, v9
	v_mul_f16_sdwa v49, v186, v47 dst_sel:DWORD dst_unused:UNUSED_PAD src0_sel:WORD_1 src1_sel:DWORD
	v_mul_f16_sdwa v50, v186, v8 dst_sel:DWORD dst_unused:UNUSED_PAD src0_sel:WORD_1 src1_sel:DWORD
	v_lshrrev_b32_e32 v26, 16, v6
	v_lshrrev_b32_e32 v28, 16, v7
	v_mul_f16_sdwa v3, v187, v48 dst_sel:DWORD dst_unused:UNUSED_PAD src0_sel:WORD_1 src1_sel:DWORD
	v_fmac_f16_e32 v49, v186, v8
	v_fma_f16 v8, v186, v47, -v50
	v_mul_f16_sdwa v47, v187, v9 dst_sel:DWORD dst_unused:UNUSED_PAD src0_sel:WORD_1 src1_sel:DWORD
	v_pack_b32_f16 v23, v23, v41
	v_lshrrev_b32_e32 v50, 16, v14
	v_fmac_f16_e32 v3, v187, v9
	v_lshrrev_b32_e32 v9, 16, v15
	v_lshrrev_b32_e32 v51, 16, v16
	v_fma_f16 v47, v187, v48, -v47
	v_lshrrev_b32_e32 v48, 16, v17
	ds_write_b32 v97, v23 offset:5760
	v_sub_f16_e32 v23, v6, v36
	v_sub_f16_e32 v36, v7, v38
	;; [unrolled: 1-line block ×4, first 2 shown]
	v_lshrrev_b32_e32 v52, 16, v20
	v_lshrrev_b32_e32 v41, 16, v21
	ds_write2_b32 v97, v22, v24 offset1:96
	v_sub_f16_e32 v24, v14, v34
	v_sub_f16_e32 v34, v15, v39
	;; [unrolled: 1-line block ×4, first 2 shown]
	s_waitcnt lgkmcnt(3)
	v_lshrrev_b32_e32 v106, 16, v4
	v_lshrrev_b32_e32 v22, 16, v5
	v_fma_f16 v6, v6, 2.0, -v23
	v_fma_f16 v7, v7, 2.0, -v36
	v_sub_f16_e32 v38, v16, v42
	v_sub_f16_e32 v11, v17, v11
	v_fma_f16 v26, v26, 2.0, -v27
	v_fma_f16 v28, v28, 2.0, -v29
	v_sub_f16_e32 v31, v51, v31
	v_sub_f16_e32 v12, v48, v12
	;; [unrolled: 1-line block ×3, first 2 shown]
	s_waitcnt lgkmcnt(2)
	v_sub_f16_e32 v42, v0, v45
	v_sub_f16_e32 v44, v1, v49
	v_lshrrev_b32_e32 v45, 16, v0
	v_lshrrev_b32_e32 v49, 16, v1
	v_pack_b32_f16 v25, v35, v25
	v_pack_b32_f16 v23, v23, v27
	v_fma_f16 v14, v14, 2.0, -v24
	v_fma_f16 v15, v15, 2.0, -v34
	v_sub_f16_e32 v13, v21, v13
	v_lshrrev_b32_e32 v27, 16, v2
	v_fma_f16 v35, v50, 2.0, -v30
	v_fma_f16 v9, v9, 2.0, -v10
	v_sub_f16_e32 v33, v52, v33
	v_sub_f16_e32 v18, v41, v18
	;; [unrolled: 1-line block ×6, first 2 shown]
	v_fma_f16 v16, v16, 2.0, -v38
	v_fma_f16 v17, v17, 2.0, -v11
	;; [unrolled: 1-line block ×4, first 2 shown]
	v_pack_b32_f16 v6, v6, v26
	v_pack_b32_f16 v7, v7, v28
	v_sub_f16_e32 v46, v45, v46
	v_sub_f16_e32 v8, v49, v8
	ds_write2_b32 v76, v25, v23 offset1:96
	v_pack_b32_f16 v23, v36, v29
	v_pack_b32_f16 v24, v24, v30
	v_fma_f16 v20, v20, 2.0, -v39
	v_fma_f16 v21, v21, 2.0, -v13
	;; [unrolled: 1-line block ×4, first 2 shown]
	v_sub_f16_e32 v3, v2, v3
	v_sub_f16_e32 v47, v27, v47
	v_pack_b32_f16 v14, v14, v35
	v_pack_b32_f16 v9, v15, v9
	;; [unrolled: 1-line block ×4, first 2 shown]
	v_fma_f16 v4, v4, 2.0, -v37
	v_fma_f16 v5, v5, 2.0, -v19
	;; [unrolled: 1-line block ×4, first 2 shown]
	ds_write2_b32 v105, v6, v7 offset0:64 offset1:160
	ds_write2_b32 v93, v23, v24 offset0:64 offset1:160
	;; [unrolled: 1-line block ×3, first 2 shown]
	v_pack_b32_f16 v6, v16, v50
	v_pack_b32_f16 v7, v17, v48
	v_fma_f16 v0, v0, 2.0, -v42
	v_fma_f16 v1, v1, 2.0, -v44
	;; [unrolled: 1-line block ×4, first 2 shown]
	v_pack_b32_f16 v9, v11, v12
	v_pack_b32_f16 v11, v39, v33
	v_fma_f16 v2, v2, 2.0, -v3
	v_fma_f16 v27, v27, 2.0, -v47
	ds_write2_b32 v91, v10, v15 offset0:128 offset1:224
	v_pack_b32_f16 v10, v20, v51
	v_pack_b32_f16 v12, v21, v41
	;; [unrolled: 1-line block ×6, first 2 shown]
	ds_write2_b32 v103, v6, v7 offset0:64 offset1:160
	ds_write2_b32 v71, v9, v11 offset0:64 offset1:160
	ds_write2_b32 v104, v10, v12 offset1:96
	v_pack_b32_f16 v6, v19, v43
	v_pack_b32_f16 v7, v42, v46
	;; [unrolled: 1-line block ×7, first 2 shown]
	ds_write2_b32 v88, v13, v14 offset1:96
	ds_write2_b32 v79, v4, v5 offset0:64 offset1:160
	ds_write2_b32 v89, v6, v7 offset0:64 offset1:160
	ds_write2_b32 v98, v0, v1 offset0:128 offset1:224
	ds_write_b32 v97, v2 offset:5376
	ds_write2_b32 v68, v8, v3 offset0:128 offset1:224
	s_waitcnt lgkmcnt(0)
	s_barrier
	buffer_gl0_inv
	ds_read2_b32 v[11:12], v97 offset1:96
	v_mad_u64_u32 v[18:19], null, s8, v94, 0
	s_waitcnt lgkmcnt(0)
	v_lshrrev_b32_e32 v2, 16, v11
	v_mul_f16_sdwa v3, v101, v11 dst_sel:DWORD dst_unused:UNUSED_PAD src0_sel:WORD_1 src1_sel:DWORD
	v_mul_f16_sdwa v0, v101, v2 dst_sel:DWORD dst_unused:UNUSED_PAD src0_sel:WORD_1 src1_sel:DWORD
	v_fma_f16 v2, v101, v2, -v3
	v_fmac_f16_e32 v0, v101, v11
	v_cvt_f32_f16_e32 v2, v2
	v_cvt_f32_f16_e32 v0, v0
	v_cvt_f64_f32_e32 v[2:3], v2
	v_cvt_f64_f32_e32 v[0:1], v0
	v_mul_f64 v[5:6], v[2:3], s[2:3]
	ds_read2_b32 v[3:4], v105 offset0:64 offset1:160
	v_mul_f64 v[0:1], v[0:1], s[2:3]
	s_waitcnt lgkmcnt(0)
	v_lshrrev_b32_e32 v10, 16, v4
	v_and_or_b32 v5, 0x1ff, v6, v5
	v_lshrrev_b32_e32 v8, 8, v6
	v_bfe_u32 v13, v6, 20, 11
	v_and_or_b32 v0, 0x1ff, v1, v0
	v_lshrrev_b32_e32 v2, 8, v1
	v_bfe_u32 v9, v1, 20, 11
	v_mul_f16_sdwa v7, v102, v10 dst_sel:DWORD dst_unused:UNUSED_PAD src0_sel:WORD_1 src1_sel:DWORD
	v_lshrrev_b32_e32 v21, 16, v1
	v_cmp_ne_u32_e32 vcc_lo, 0, v0
	v_fmac_f16_e32 v7, v102, v4
	v_mul_f16_sdwa v4, v102, v4 dst_sel:DWORD dst_unused:UNUSED_PAD src0_sel:WORD_1 src1_sel:DWORD
	v_cndmask_b32_e64 v0, 0, 1, vcc_lo
	v_cmp_ne_u32_e32 vcc_lo, 0, v5
	v_cvt_f32_f16_e32 v7, v7
	v_fma_f16 v10, v102, v10, -v4
	v_and_or_b32 v2, 0xffe, v2, v0
	v_sub_nc_u32_e32 v0, 0x3f1, v9
	v_cndmask_b32_e64 v5, 0, 1, vcc_lo
	v_cvt_f32_f16_e32 v10, v10
	v_or_b32_e32 v11, 0x1000, v2
	v_med3_i32 v0, v0, 0, 13
	v_and_or_b32 v15, 0xffe, v8, v5
	v_sub_nc_u32_e32 v5, 0x3f1, v13
	v_cvt_f64_f32_e32 v[7:8], v7
	v_lshrrev_b32_e32 v14, v0, v11
	v_or_b32_e32 v16, 0x1000, v15
	v_med3_i32 v5, v5, 0, 13
	v_lshlrev_b32_e32 v0, v0, v14
	v_cmp_ne_u32_e32 vcc_lo, v0, v11
	v_add_nc_u32_e32 v11, 0xfffffc10, v9
	v_lshrrev_b32_e32 v9, v5, v16
	v_cndmask_b32_e64 v0, 0, 1, vcc_lo
	v_cmp_gt_i32_e32 vcc_lo, 1, v11
	v_lshlrev_b32_e32 v5, v5, v9
	v_cmp_gt_i32_e64 s1, 31, v11
	v_or_b32_e32 v0, v14, v0
	v_lshl_or_b32 v14, v11, 12, v2
	v_mul_f64 v[7:8], v[7:8], s[2:3]
	v_cndmask_b32_e32 v0, v14, v0, vcc_lo
	v_cmp_ne_u32_e32 vcc_lo, v5, v16
	v_add_nc_u32_e32 v16, 0xfffffc10, v13
	v_mad_u64_u32 v[4:5], null, s10, v40, 0
	v_and_b32_e32 v17, 7, v0
	v_cndmask_b32_e64 v14, 0, 1, vcc_lo
	v_cmp_gt_i32_e32 vcc_lo, 1, v16
	v_cmp_eq_u32_e64 s0, 3, v17
	v_or_b32_e32 v13, v9, v14
	v_lshl_or_b32 v14, v16, 12, v15
	v_cvt_f64_f32_e32 v[9:10], v10
	v_cndmask_b32_e32 v13, v14, v13, vcc_lo
	v_cmp_lt_i32_e32 vcc_lo, 5, v17
	v_lshrrev_b32_e32 v14, 2, v0
	v_mov_b32_e32 v0, v5
	v_and_or_b32 v7, 0x1ff, v8, v7
	v_and_b32_e32 v5, 7, v13
	s_or_b32 vcc_lo, s0, vcc_lo
	v_add_co_ci_u32_e32 v14, vcc_lo, 0, v14, vcc_lo
	v_cmp_ne_u32_e32 vcc_lo, 0, v2
	v_cmp_eq_u32_e64 s0, 3, v5
	v_mad_u64_u32 v[0:1], null, s11, v40, v[0:1]
	v_cndmask_b32_e64 v17, 0x7c00, v14, s1
	v_cndmask_b32_e64 v2, 0, 1, vcc_lo
	v_cmp_lt_i32_e32 vcc_lo, 5, v5
	v_lshrrev_b32_e32 v5, 2, v13
	v_mul_f64 v[13:14], v[9:10], s[2:3]
	v_mov_b32_e32 v1, v19
	v_lshl_or_b32 v2, v2, 9, 0x7c00
	s_or_b32 vcc_lo, s0, vcc_lo
	v_add_co_ci_u32_e32 v5, vcc_lo, 0, v5, vcc_lo
	v_cmp_eq_u32_e32 vcc_lo, 0x40f, v11
	ds_read2_b32 v[10:11], v103 offset0:64 offset1:160
	v_cndmask_b32_e32 v9, v17, v2, vcc_lo
	v_cmp_ne_u32_e32 vcc_lo, 0, v7
	v_lshrrev_b32_e32 v7, 8, v8
	v_bfe_u32 v17, v8, 20, 11
	v_cndmask_b32_e64 v2, 0, 1, vcc_lo
	v_cmp_ne_u32_e32 vcc_lo, 0, v15
	v_and_or_b32 v13, 0x1ff, v14, v13
	v_and_or_b32 v20, 0xffe, v7, v2
	v_cndmask_b32_e64 v15, 0, 1, vcc_lo
	v_sub_nc_u32_e32 v2, 0x3f1, v17
	v_cmp_gt_i32_e32 vcc_lo, 31, v16
	v_bfe_u32 v23, v14, 20, 11
	s_waitcnt lgkmcnt(0)
	v_lshrrev_b32_e32 v22, 16, v10
	v_lshl_or_b32 v7, v15, 9, 0x7c00
	v_or_b32_e32 v15, 0x1000, v20
	v_cndmask_b32_e32 v5, 0x7c00, v5, vcc_lo
	v_med3_i32 v2, v2, 0, 13
	v_cmp_eq_u32_e32 vcc_lo, 0x40f, v16
	v_lshrrev_b32_e32 v16, 16, v6
	v_mul_f16_sdwa v19, v100, v22 dst_sel:DWORD dst_unused:UNUSED_PAD src0_sel:WORD_1 src1_sel:DWORD
	v_cndmask_b32_e32 v5, v5, v7, vcc_lo
	v_lshrrev_b32_e32 v7, v2, v15
	v_cmp_ne_u32_e32 vcc_lo, 0, v13
	v_lshrrev_b32_e32 v13, 8, v14
	v_fmac_f16_e32 v19, v100, v10
	v_lshrrev_b32_e32 v14, 16, v14
	v_lshlrev_b32_e32 v2, v2, v7
	v_cndmask_b32_e64 v6, 0, 1, vcc_lo
	v_cvt_f32_f16_e32 v19, v19
	v_cmp_ne_u32_e32 vcc_lo, v2, v15
	v_and_or_b32 v13, 0xffe, v13, v6
	v_sub_nc_u32_e32 v6, 0x3f1, v23
	v_add_nc_u32_e32 v15, 0xfffffc10, v17
	v_cndmask_b32_e64 v2, 0, 1, vcc_lo
	v_or_b32_e32 v17, 0x1000, v13
	v_med3_i32 v24, v6, 0, 13
	v_lshl_or_b32 v6, v15, 12, v20
	v_cmp_gt_i32_e32 vcc_lo, 1, v15
	v_or_b32_e32 v7, v7, v2
	v_mad_u64_u32 v[1:2], null, s9, v94, v[1:2]
	v_lshrrev_b32_e32 v25, v24, v17
	v_and_or_b32 v2, 0x8000, v21, v9
	v_cndmask_b32_e32 v26, v6, v7, vcc_lo
	v_cvt_f64_f32_e32 v[6:7], v19
	v_and_or_b32 v9, 0x8000, v16, v5
	v_lshlrev_b32_e32 v21, v24, v25
	v_mov_b32_e32 v19, v1
	v_and_b32_e32 v16, 7, v26
	v_lshrrev_b32_e32 v1, 2, v26
	v_and_b32_e32 v2, 0xffff, v2
	v_cmp_ne_u32_e64 s1, v21, v17
	v_mov_b32_e32 v5, v0
	v_cmp_lt_i32_e32 vcc_lo, 5, v16
	v_cmp_eq_u32_e64 s0, 3, v16
	v_mul_f16_sdwa v0, v100, v10 dst_sel:DWORD dst_unused:UNUSED_PAD src0_sel:WORD_1 src1_sel:DWORD
	v_lshl_or_b32 v2, v9, 16, v2
	v_cndmask_b32_e64 v9, 0, 1, s1
	v_add_nc_u32_e32 v21, 0xfffffc10, v23
	s_or_b32 vcc_lo, s0, vcc_lo
	v_fma_f16 v0, v100, v22, -v0
	v_add_co_ci_u32_e32 v1, vcc_lo, 0, v1, vcc_lo
	v_cmp_ne_u32_e32 vcc_lo, 0, v20
	v_or_b32_e32 v16, v25, v9
	v_lshl_or_b32 v17, v21, 12, v13
	v_cvt_f32_f16_e32 v0, v0
	v_mul_f64 v[9:10], v[6:7], s[2:3]
	v_cndmask_b32_e64 v20, 0, 1, vcc_lo
	v_cmp_gt_i32_e32 vcc_lo, 1, v21
	v_lshlrev_b64 v[4:5], 2, v[4:5]
	v_cvt_f64_f32_e32 v[6:7], v0
	v_lshl_or_b32 v20, v20, 9, 0x7c00
	v_cndmask_b32_e32 v22, v17, v16, vcc_lo
	v_cmp_gt_i32_e32 vcc_lo, 31, v15
	v_and_b32_e32 v24, 7, v22
	v_cndmask_b32_e32 v23, 0x7c00, v1, vcc_lo
	v_add_co_u32 v17, vcc_lo, s4, v4
	v_add_co_ci_u32_e32 v16, vcc_lo, s5, v5, vcc_lo
	v_cmp_eq_u32_e32 vcc_lo, 0x40f, v15
	ds_read2_b32 v[0:1], v104 offset1:96
	v_cmp_eq_u32_e64 s0, 3, v24
	v_lshlrev_b64 v[4:5], 2, v[18:19]
	s_mul_hi_u32 s4, s8, 0x480
	v_cndmask_b32_e32 v15, v23, v20, vcc_lo
	v_cmp_lt_i32_e32 vcc_lo, 5, v24
	v_lshrrev_b32_e32 v20, 16, v8
	v_lshrrev_b32_e32 v8, 2, v22
	v_and_or_b32 v22, 0x1ff, v10, v9
	s_mul_i32 s5, s8, 0x480
	s_or_b32 vcc_lo, s0, vcc_lo
	s_mul_i32 s0, s9, 0x480
	v_add_co_ci_u32_e32 v18, vcc_lo, 0, v8, vcc_lo
	v_cmp_ne_u32_e32 vcc_lo, 0, v13
	v_mul_f64 v[8:9], v[6:7], s[2:3]
	v_lshrrev_b32_e32 v13, 8, v10
	s_add_i32 s4, s4, s0
	v_cndmask_b32_e64 v6, 0, 1, vcc_lo
	v_cmp_ne_u32_e32 vcc_lo, 0, v22
	s_waitcnt lgkmcnt(0)
	v_lshrrev_b32_e32 v19, 16, v1
	v_bfe_u32 v22, v10, 20, 11
	v_lshrrev_b32_e32 v10, 16, v10
	v_lshl_or_b32 v6, v6, 9, 0x7c00
	v_cndmask_b32_e64 v7, 0, 1, vcc_lo
	v_mul_f16_sdwa v23, v96, v19 dst_sel:DWORD dst_unused:UNUSED_PAD src0_sel:WORD_1 src1_sel:DWORD
	v_cmp_gt_i32_e32 vcc_lo, 31, v21
	v_and_or_b32 v24, 0xffe, v13, v7
	v_sub_nc_u32_e32 v7, 0x3f1, v22
	v_fmac_f16_e32 v23, v96, v1
	v_and_or_b32 v13, 0x8000, v20, v15
	v_cndmask_b32_e32 v18, 0x7c00, v18, vcc_lo
	v_or_b32_e32 v15, 0x1000, v24
	v_med3_i32 v20, v7, 0, 13
	v_cmp_eq_u32_e32 vcc_lo, 0x40f, v21
	v_cvt_f32_f16_e32 v7, v23
	v_and_or_b32 v8, 0x1ff, v9, v8
	v_bfe_u32 v23, v9, 20, 11
	v_lshrrev_b32_e32 v21, v20, v15
	v_cndmask_b32_e32 v18, v18, v6, vcc_lo
	v_add_co_u32 v4, vcc_lo, v17, v4
	v_cvt_f64_f32_e32 v[6:7], v7
	v_add_co_ci_u32_e32 v5, vcc_lo, v16, v5, vcc_lo
	v_lshlrev_b32_e32 v20, v20, v21
	v_cmp_ne_u32_e32 vcc_lo, 0, v8
	v_and_or_b32 v14, 0x8000, v14, v18
	v_lshrrev_b32_e32 v18, 8, v9
	v_add_nc_u32_e32 v22, 0xfffffc10, v22
	v_and_b32_e32 v13, 0xffff, v13
	v_cndmask_b32_e64 v8, 0, 1, vcc_lo
	v_cmp_ne_u32_e32 vcc_lo, v20, v15
	v_mul_f16_sdwa v1, v96, v1 dst_sel:DWORD dst_unused:UNUSED_PAD src0_sel:WORD_1 src1_sel:DWORD
	v_lshrrev_b32_e32 v9, 16, v9
	v_lshl_or_b32 v26, v14, 16, v13
	v_and_or_b32 v25, 0xffe, v18, v8
	v_cndmask_b32_e64 v15, 0, 1, vcc_lo
	v_sub_nc_u32_e32 v8, 0x3f1, v23
	v_lshl_or_b32 v18, v22, 12, v24
	v_cmp_gt_i32_e32 vcc_lo, 1, v22
	v_or_b32_e32 v20, 0x1000, v25
	v_or_b32_e32 v15, v21, v15
	v_med3_i32 v8, v8, 0, 13
	v_mul_f64 v[13:14], v[6:7], s[2:3]
	v_fma_f16 v1, v96, v19, -v1
	global_store_dword v[4:5], v2, off
	v_cndmask_b32_e32 v6, v18, v15, vcc_lo
	v_lshrrev_b32_e32 v7, v8, v20
	v_cvt_f32_f16_e32 v1, v1
	v_and_b32_e32 v15, 7, v6
	v_lshlrev_b32_e32 v8, v8, v7
	v_cvt_f64_f32_e32 v[18:19], v1
	v_lshrrev_b32_e32 v1, 2, v6
	v_cmp_lt_i32_e32 vcc_lo, 5, v15
	v_cmp_eq_u32_e64 s0, 3, v15
	v_cmp_ne_u32_e64 s1, v8, v20
	v_add_nc_u32_e32 v15, 0xfffffc10, v23
	s_or_b32 vcc_lo, s0, vcc_lo
	v_cndmask_b32_e64 v6, 0, 1, s1
	v_add_co_ci_u32_e32 v1, vcc_lo, 0, v1, vcc_lo
	v_cmp_ne_u32_e32 vcc_lo, 0, v24
	v_and_or_b32 v13, 0x1ff, v14, v13
	v_or_b32_e32 v6, v7, v6
	ds_read2_b32 v[7:8], v98 offset0:128 offset1:224
	v_lshl_or_b32 v20, v15, 12, v25
	v_cndmask_b32_e64 v21, 0, 1, vcc_lo
	v_cmp_gt_i32_e32 vcc_lo, 1, v15
	v_bfe_u32 v24, v14, 20, 11
	v_mul_f64 v[18:19], v[18:19], s[2:3]
	v_cndmask_b32_e32 v6, v20, v6, vcc_lo
	v_cmp_ne_u32_e32 vcc_lo, 0, v13
	v_lshrrev_b32_e32 v20, 8, v14
	v_lshl_or_b32 v23, v21, 9, 0x7c00
	v_sub_nc_u32_e32 v28, 0x3f1, v24
	v_and_b32_e32 v27, 7, v6
	v_cndmask_b32_e64 v13, 0, 1, vcc_lo
	v_cmp_gt_i32_e32 vcc_lo, 31, v22
	v_lshrrev_b32_e32 v6, 2, v6
	v_add_nc_u32_e32 v24, 0xfffffc10, v24
	v_cmp_eq_u32_e64 s0, 3, v27
	v_and_or_b32 v13, 0xffe, v20, v13
	v_cndmask_b32_e32 v1, 0x7c00, v1, vcc_lo
	v_add_co_u32 v20, vcc_lo, v4, s5
	v_add_co_ci_u32_e32 v21, vcc_lo, s4, v5, vcc_lo
	v_cmp_eq_u32_e32 vcc_lo, 0x40f, v22
	s_waitcnt lgkmcnt(0)
	v_lshrrev_b32_e32 v29, 16, v7
	v_or_b32_e32 v30, 0x1000, v13
	v_med3_i32 v22, v28, 0, 13
	v_and_or_b32 v18, 0x1ff, v19, v18
	v_cndmask_b32_e32 v1, v1, v23, vcc_lo
	v_cmp_lt_i32_e32 vcc_lo, 5, v27
	v_mul_f16_sdwa v23, v95, v29 dst_sel:DWORD dst_unused:UNUSED_PAD src0_sel:WORD_1 src1_sel:DWORD
	v_lshrrev_b32_e32 v27, v22, v30
	v_lshrrev_b32_e32 v31, 8, v19
	v_bfe_u32 v32, v19, 20, 11
	s_or_b32 vcc_lo, s0, vcc_lo
	v_fmac_f16_e32 v23, v95, v7
	v_add_co_ci_u32_e32 v6, vcc_lo, 0, v6, vcc_lo
	v_cmp_ne_u32_e32 vcc_lo, 0, v25
	v_lshlrev_b32_e32 v28, v22, v27
	v_cvt_f32_f16_e32 v23, v23
	v_mul_f16_sdwa v7, v95, v7 dst_sel:DWORD dst_unused:UNUSED_PAD src0_sel:WORD_1 src1_sel:DWORD
	v_and_or_b32 v1, 0x8000, v10, v1
	v_cndmask_b32_e64 v25, 0, 1, vcc_lo
	v_cmp_gt_i32_e32 vcc_lo, 31, v15
	v_cvt_f64_f32_e32 v[22:23], v23
	v_fma_f16 v7, v95, v29, -v7
	v_and_b32_e32 v1, 0xffff, v1
	v_lshl_or_b32 v25, v25, 9, 0x7c00
	v_cndmask_b32_e32 v6, 0x7c00, v6, vcc_lo
	v_cmp_ne_u32_e32 vcc_lo, 0, v18
	v_cvt_f32_f16_e32 v10, v7
	global_store_dword v[20:21], v26, off
	v_cndmask_b32_e64 v18, 0, 1, vcc_lo
	v_cmp_ne_u32_e32 vcc_lo, v28, v30
	v_sub_nc_u32_e32 v30, 0x3f1, v32
	v_and_or_b32 v18, 0xffe, v31, v18
	v_cndmask_b32_e64 v28, 0, 1, vcc_lo
	v_cmp_eq_u32_e32 vcc_lo, 0x40f, v15
	v_cndmask_b32_e32 v15, v6, v25, vcc_lo
	v_or_b32_e32 v6, v27, v28
	v_lshl_or_b32 v28, v24, 12, v13
	v_cmp_gt_i32_e32 vcc_lo, 1, v24
	v_or_b32_e32 v25, 0x1000, v18
	v_med3_i32 v27, v30, 0, 13
	v_and_or_b32 v15, 0x8000, v9, v15
	v_cvt_f64_f32_e32 v[9:10], v10
	v_cndmask_b32_e32 v28, v28, v6, vcc_lo
	v_mul_f64 v[6:7], v[22:23], s[2:3]
	v_lshrrev_b32_e32 v29, v27, v25
	v_add_nc_u32_e32 v23, 0xfffffc10, v32
	v_lshl_or_b32 v15, v15, 16, v1
	v_and_b32_e32 v22, 7, v28
	v_lshlrev_b32_e32 v2, v27, v29
	v_cmp_lt_i32_e32 vcc_lo, 5, v22
	v_cmp_eq_u32_e64 s0, 3, v22
	v_cmp_ne_u32_e64 s1, v2, v25
	ds_read2_b32 v[1:2], v99 offset0:64 offset1:160
	v_lshl_or_b32 v25, v23, 12, v18
	s_or_b32 vcc_lo, s0, vcc_lo
	v_cndmask_b32_e64 v22, 0, 1, s1
	v_add_co_u32 v4, s1, v20, s5
	v_lshrrev_b32_e32 v20, 2, v28
	v_add_co_ci_u32_e64 v5, s1, s4, v21, s1
	v_or_b32_e32 v22, v29, v22
	v_and_or_b32 v6, 0x1ff, v7, v6
	v_add_co_ci_u32_e32 v26, vcc_lo, 0, v20, vcc_lo
	v_cmp_gt_i32_e32 vcc_lo, 1, v23
	v_mul_f64 v[20:21], v[9:10], s[2:3]
	v_lshrrev_b32_e32 v10, 8, v7
	global_store_dword v[4:5], v15, off
	v_cndmask_b32_e32 v9, v25, v22, vcc_lo
	v_cmp_ne_u32_e32 vcc_lo, 0, v6
	v_bfe_u32 v22, v7, 20, 11
	s_waitcnt lgkmcnt(0)
	v_lshrrev_b32_e32 v27, 16, v2
	v_and_b32_e32 v25, 7, v9
	v_cndmask_b32_e64 v6, 0, 1, vcc_lo
	v_cmp_ne_u32_e32 vcc_lo, 0, v13
	v_lshrrev_b32_e32 v9, 2, v9
	v_mul_f16_sdwa v29, v92, v27 dst_sel:DWORD dst_unused:UNUSED_PAD src0_sel:WORD_1 src1_sel:DWORD
	v_cmp_eq_u32_e64 s0, 3, v25
	v_and_or_b32 v6, 0xffe, v10, v6
	v_cndmask_b32_e64 v13, 0, 1, vcc_lo
	v_cmp_gt_i32_e32 vcc_lo, 31, v24
	v_sub_nc_u32_e32 v10, 0x3f1, v22
	v_fmac_f16_e32 v29, v92, v2
	v_or_b32_e32 v28, 0x1000, v6
	v_lshl_or_b32 v13, v13, 9, 0x7c00
	v_cndmask_b32_e32 v26, 0x7c00, v26, vcc_lo
	v_cmp_lt_i32_e32 vcc_lo, 5, v25
	v_med3_i32 v10, v10, 0, 13
	v_and_or_b32 v20, 0x1ff, v21, v20
	v_lshrrev_b32_e32 v31, 8, v21
	v_bfe_u32 v32, v21, 20, 11
	s_or_b32 vcc_lo, s0, vcc_lo
	v_lshrrev_b32_e32 v25, v10, v28
	v_add_co_ci_u32_e32 v9, vcc_lo, 0, v9, vcc_lo
	v_cmp_gt_i32_e32 vcc_lo, 31, v23
	v_add_nc_u32_e32 v22, 0xfffffc10, v22
	v_lshlrev_b32_e32 v30, v10, v25
	v_cvt_f32_f16_e32 v10, v29
	v_mul_f16_sdwa v2, v92, v2 dst_sel:DWORD dst_unused:UNUSED_PAD src0_sel:WORD_1 src1_sel:DWORD
	v_cndmask_b32_e32 v29, 0x7c00, v9, vcc_lo
	v_cmp_ne_u32_e32 vcc_lo, 0, v20
	v_cmp_eq_u32_e64 s1, 0x40f, v22
	v_cvt_f64_f32_e32 v[9:10], v10
	v_fma_f16 v2, v92, v27, -v2
	v_cndmask_b32_e64 v20, 0, 1, vcc_lo
	v_cmp_ne_u32_e32 vcc_lo, v30, v28
	v_sub_nc_u32_e32 v30, 0x3f1, v32
	v_cvt_f32_f16_e32 v2, v2
	v_and_or_b32 v20, 0xffe, v31, v20
	v_cndmask_b32_e64 v28, 0, 1, vcc_lo
	v_cmp_ne_u32_e32 vcc_lo, 0, v18
	v_med3_i32 v30, v30, 0, 13
	v_or_b32_e32 v31, 0x1000, v20
	v_or_b32_e32 v25, v25, v28
	v_cndmask_b32_e64 v18, 0, 1, vcc_lo
	v_cmp_eq_u32_e32 vcc_lo, 0x40f, v24
	v_lshl_or_b32 v28, v22, 12, v6
	v_lshrrev_b32_e32 v33, v30, v31
	v_lshl_or_b32 v18, v18, 9, 0x7c00
	v_cndmask_b32_e32 v24, v26, v13, vcc_lo
	v_cmp_gt_i32_e32 vcc_lo, 1, v22
	v_lshrrev_b32_e32 v26, 16, v14
	v_mul_f64 v[13:14], v[9:10], s[2:3]
	v_lshrrev_b32_e32 v10, 16, v19
	v_cndmask_b32_e32 v25, v28, v25, vcc_lo
	v_cmp_eq_u32_e32 vcc_lo, 0x40f, v23
	v_and_or_b32 v15, 0x8000, v26, v24
	v_add_nc_u32_e32 v24, 0xfffffc10, v32
	v_and_b32_e32 v19, 7, v25
	v_cndmask_b32_e32 v9, v29, v18, vcc_lo
	v_lshlrev_b32_e32 v18, v30, v33
	v_and_b32_e32 v15, 0xffff, v15
	v_cmp_lt_i32_e32 vcc_lo, 5, v19
	v_and_or_b32 v23, 0x8000, v10, v9
	v_cmp_ne_u32_e64 s0, v18, v31
	v_cvt_f64_f32_e32 v[9:10], v2
	v_lshrrev_b32_e32 v2, 2, v25
	v_lshrrev_b32_e32 v31, 16, v7
	v_lshl_or_b32 v15, v23, 16, v15
	v_cndmask_b32_e64 v18, 0, 1, s0
	v_cmp_eq_u32_e64 s0, 3, v19
	v_lshl_or_b32 v19, v24, 12, v20
	v_and_or_b32 v13, 0x1ff, v14, v13
	v_lshrrev_b32_e32 v26, 8, v14
	v_or_b32_e32 v18, v33, v18
	s_or_b32 vcc_lo, s0, vcc_lo
	v_bfe_u32 v28, v14, 20, 11
	v_add_co_ci_u32_e32 v2, vcc_lo, 0, v2, vcc_lo
	v_cmp_ne_u32_e32 vcc_lo, 0, v6
	v_lshrrev_b32_e32 v14, 16, v14
	v_sub_nc_u32_e32 v23, 0x3f1, v28
	v_add_nc_u32_e32 v28, 0xfffffc10, v28
	v_cndmask_b32_e64 v6, 0, 1, vcc_lo
	v_cmp_gt_i32_e32 vcc_lo, 1, v24
	v_lshl_or_b32 v6, v6, 9, 0x7c00
	v_cndmask_b32_e32 v25, v19, v18, vcc_lo
	v_cmp_gt_i32_e32 vcc_lo, 31, v22
	v_mul_f64 v[18:19], v[9:10], s[2:3]
	ds_read2_b32 v[9:10], v93 offset0:64 offset1:160
	v_and_b32_e32 v27, 7, v25
	v_cndmask_b32_e32 v2, 0x7c00, v2, vcc_lo
	v_cmp_ne_u32_e32 vcc_lo, 0, v13
	v_lshrrev_b32_e32 v25, 2, v25
	v_cmp_eq_u32_e64 s0, 3, v27
	v_cndmask_b32_e64 v29, v2, v6, s1
	v_cndmask_b32_e64 v13, 0, 1, vcc_lo
	v_cmp_lt_i32_e32 vcc_lo, 5, v27
	v_med3_i32 v27, v23, 0, 13
	v_mad_u64_u32 v[22:23], null, s8, v86, 0
	v_and_or_b32 v13, 0xffe, v26, v13
	s_or_b32 vcc_lo, s0, vcc_lo
	v_add_co_ci_u32_e32 v2, vcc_lo, 0, v25, vcc_lo
	v_or_b32_e32 v26, 0x1000, v13
	v_cmp_ne_u32_e32 vcc_lo, 0, v20
	s_waitcnt lgkmcnt(0)
	v_lshrrev_b32_e32 v30, 16, v9
	v_and_or_b32 v18, 0x1ff, v19, v18
	v_bfe_u32 v32, v19, 20, 11
	v_lshrrev_b32_e32 v6, v27, v26
	v_cndmask_b32_e64 v20, 0, 1, vcc_lo
	v_cmp_gt_i32_e32 vcc_lo, 31, v24
	v_mul_f16_sdwa v7, v90, v30 dst_sel:DWORD dst_unused:UNUSED_PAD src0_sel:WORD_1 src1_sel:DWORD
	v_lshlrev_b32_e32 v27, v27, v6
	v_lshl_or_b32 v20, v20, 9, 0x7c00
	v_cndmask_b32_e32 v25, 0x7c00, v2, vcc_lo
	v_cmp_ne_u32_e32 vcc_lo, 0, v18
	v_fmac_f16_e32 v7, v90, v9
	v_mov_b32_e32 v2, v23
	v_lshrrev_b32_e32 v23, 8, v19
	v_cndmask_b32_e64 v18, 0, 1, vcc_lo
	v_cmp_ne_u32_e32 vcc_lo, v27, v26
	v_cvt_f32_f16_e32 v7, v7
	v_lshl_or_b32 v27, v28, 12, v13
	v_and_or_b32 v18, 0xffe, v23, v18
	v_cndmask_b32_e64 v26, 0, 1, vcc_lo
	v_sub_nc_u32_e32 v23, 0x3f1, v32
	v_cmp_eq_u32_e32 vcc_lo, 0x40f, v24
	v_or_b32_e32 v33, 0x1000, v18
	v_or_b32_e32 v26, v6, v26
	v_cvt_f64_f32_e32 v[6:7], v7
	v_med3_i32 v23, v23, 0, 13
	v_cndmask_b32_e32 v34, v25, v20, vcc_lo
	v_cmp_gt_i32_e32 vcc_lo, 1, v28
	v_lshrrev_b32_e32 v36, v23, v33
	v_cndmask_b32_e32 v35, v27, v26, vcc_lo
	v_lshrrev_b32_e32 v26, 16, v21
	v_mad_u64_u32 v[20:21], null, s9, v86, v[2:3]
	v_lshlrev_b32_e32 v21, v23, v36
	v_and_b32_e32 v2, 7, v35
	v_add_co_u32 v24, vcc_lo, v4, s5
	v_add_co_ci_u32_e32 v25, vcc_lo, s4, v5, vcc_lo
	v_cmp_ne_u32_e64 s1, v21, v33
	v_cmp_lt_i32_e32 vcc_lo, 5, v2
	v_cmp_eq_u32_e64 s0, 3, v2
	v_and_or_b32 v4, 0x8000, v31, v29
	v_and_or_b32 v29, 0x8000, v26, v34
	v_mul_f16_sdwa v5, v90, v9 dst_sel:DWORD dst_unused:UNUSED_PAD src0_sel:WORD_1 src1_sel:DWORD
	v_mul_f64 v[26:27], v[6:7], s[2:3]
	v_lshrrev_b32_e32 v6, 2, v35
	v_cndmask_b32_e64 v2, 0, 1, s1
	v_add_nc_u32_e32 v9, 0xfffffc10, v32
	s_or_b32 vcc_lo, s0, vcc_lo
	v_fma_f16 v5, v90, v30, -v5
	v_add_co_ci_u32_e32 v21, vcc_lo, 0, v6, vcc_lo
	v_or_b32_e32 v2, v36, v2
	v_lshl_or_b32 v7, v9, 12, v18
	v_cmp_gt_i32_e32 vcc_lo, 1, v9
	v_cvt_f32_f16_e32 v5, v5
	v_mov_b32_e32 v23, v20
	v_and_b32_e32 v20, 0xffff, v4
	v_cmp_eq_u32_e64 s1, 0x40f, v28
	v_cndmask_b32_e32 v2, v7, v2, vcc_lo
	v_cmp_ne_u32_e32 vcc_lo, 0, v13
	v_cvt_f64_f32_e32 v[6:7], v5
	global_store_dword v[24:25], v15, off
	v_and_b32_e32 v13, 7, v2
	v_cndmask_b32_e64 v5, 0, 1, vcc_lo
	v_cmp_gt_i32_e32 vcc_lo, 31, v28
	v_lshrrev_b32_e32 v2, 2, v2
	v_cmp_eq_u32_e64 s0, 3, v13
	v_lshl_or_b32 v30, v5, 9, 0x7c00
	v_cndmask_b32_e32 v21, 0x7c00, v21, vcc_lo
	v_cmp_lt_i32_e32 vcc_lo, 5, v13
	ds_read2_b32 v[4:5], v91 offset0:128 offset1:224
	v_and_or_b32 v13, 0x1ff, v27, v26
	v_lshl_or_b32 v26, v29, 16, v20
	v_cndmask_b32_e64 v28, v21, v30, s1
	s_or_b32 vcc_lo, s0, vcc_lo
	v_lshrrev_b32_e32 v29, 8, v27
	v_add_co_ci_u32_e32 v2, vcc_lo, 0, v2, vcc_lo
	v_cmp_ne_u32_e32 vcc_lo, 0, v13
	v_bfe_u32 v30, v27, 20, 11
	v_mul_f64 v[20:21], v[6:7], s[2:3]
	v_and_or_b32 v14, 0x8000, v14, v28
	s_mul_i32 s0, s9, 0x900
	v_cndmask_b32_e64 v13, 0, 1, vcc_lo
	v_cmp_ne_u32_e32 vcc_lo, 0, v18
	v_sub_nc_u32_e32 v7, 0x3f1, v30
	s_add_i32 s6, s6, s0
	v_lshrrev_b32_e32 v27, 16, v27
	v_and_or_b32 v29, 0xffe, v29, v13
	v_cndmask_b32_e64 v6, 0, 1, vcc_lo
	s_waitcnt lgkmcnt(0)
	v_lshrrev_b32_e32 v18, 16, v5
	v_med3_i32 v13, v7, 0, 13
	v_cmp_gt_i32_e32 vcc_lo, 31, v9
	v_or_b32_e32 v31, 0x1000, v29
	v_lshl_or_b32 v33, v6, 9, 0x7c00
	v_mul_f16_sdwa v32, v87, v18 dst_sel:DWORD dst_unused:UNUSED_PAD src0_sel:WORD_1 src1_sel:DWORD
	v_lshlrev_b64 v[6:7], 2, v[22:23]
	v_cndmask_b32_e32 v2, 0x7c00, v2, vcc_lo
	v_lshrrev_b32_e32 v22, v13, v31
	v_cmp_eq_u32_e32 vcc_lo, 0x40f, v9
	v_fmac_f16_e32 v32, v87, v5
	v_lshrrev_b32_e32 v9, 16, v19
	v_and_or_b32 v20, 0x1ff, v21, v20
	v_lshlrev_b32_e32 v19, v13, v22
	v_cndmask_b32_e32 v2, v2, v33, vcc_lo
	v_cvt_f32_f16_e32 v13, v32
	v_add_co_u32 v6, vcc_lo, v17, v6
	v_add_co_ci_u32_e32 v7, vcc_lo, v16, v7, vcc_lo
	v_cmp_ne_u32_e32 vcc_lo, v19, v31
	v_and_or_b32 v2, 0x8000, v9, v2
	v_and_b32_e32 v9, 0xffff, v14
	v_cvt_f64_f32_e32 v[13:14], v13
	global_store_dword v[6:7], v26, off
	v_cndmask_b32_e64 v15, 0, 1, vcc_lo
	v_cmp_ne_u32_e32 vcc_lo, 0, v20
	v_mul_f16_sdwa v5, v87, v5 dst_sel:DWORD dst_unused:UNUSED_PAD src0_sel:WORD_1 src1_sel:DWORD
	v_add_nc_u32_e32 v26, 0xfffffc10, v30
	v_lshrrev_b32_e32 v20, 8, v21
	v_bfe_u32 v23, v21, 20, 11
	v_cndmask_b32_e64 v19, 0, 1, vcc_lo
	v_or_b32_e32 v7, v22, v15
	v_fma_f16 v5, v87, v18, -v5
	v_lshl_or_b32 v15, v26, 12, v29
	v_cmp_gt_i32_e32 vcc_lo, 1, v26
	v_and_or_b32 v20, 0xffe, v20, v19
	v_sub_nc_u32_e32 v6, 0x3f1, v23
	v_cvt_f32_f16_e32 v5, v5
	v_lshl_or_b32 v2, v2, 16, v9
	v_cndmask_b32_e32 v7, v15, v7, vcc_lo
	v_or_b32_e32 v22, 0x1000, v20
	v_med3_i32 v6, v6, 0, 13
	v_cvt_f64_f32_e32 v[18:19], v5
	v_add_nc_u32_e32 v28, 0xfffffc10, v23
	v_and_b32_e32 v5, 7, v7
	v_mul_f64 v[13:14], v[13:14], s[2:3]
	v_lshrrev_b32_e32 v9, v6, v22
	v_cmp_lt_i32_e32 vcc_lo, 5, v5
	v_cmp_eq_u32_e64 s0, 3, v5
	v_lshrrev_b32_e32 v5, 2, v7
	v_lshlrev_b32_e32 v6, v6, v9
	s_or_b32 vcc_lo, s0, vcc_lo
	v_add_co_ci_u32_e32 v5, vcc_lo, 0, v5, vcc_lo
	v_cmp_ne_u32_e32 vcc_lo, 0, v29
	v_cmp_ne_u32_e64 s1, v6, v22
	ds_read2_b32 v[6:7], v88 offset1:96
	v_cndmask_b32_e64 v29, 0, 1, vcc_lo
	v_add_co_u32 v22, vcc_lo, v24, s7
	v_add_co_ci_u32_e32 v23, vcc_lo, s6, v25, vcc_lo
	v_cndmask_b32_e64 v15, 0, 1, s1
	v_cmp_gt_i32_e32 vcc_lo, 31, v26
	v_mul_f64 v[18:19], v[18:19], s[2:3]
	v_and_or_b32 v13, 0x1ff, v14, v13
	v_bfe_u32 v30, v14, 20, 11
	v_or_b32_e32 v9, v9, v15
	v_lshl_or_b32 v15, v28, 12, v20
	v_cndmask_b32_e32 v5, 0x7c00, v5, vcc_lo
	v_cmp_gt_i32_e32 vcc_lo, 1, v28
	v_lshl_or_b32 v24, v29, 9, 0x7c00
	global_store_dword v[22:23], v2, off
	s_waitcnt lgkmcnt(0)
	v_lshrrev_b32_e32 v31, 16, v6
	v_cndmask_b32_e32 v9, v15, v9, vcc_lo
	v_cmp_ne_u32_e32 vcc_lo, 0, v13
	v_lshrrev_b32_e32 v15, 8, v14
	v_lshrrev_b32_e32 v14, 16, v14
	v_mul_f16_sdwa v29, v84, v31 dst_sel:DWORD dst_unused:UNUSED_PAD src0_sel:WORD_1 src1_sel:DWORD
	v_and_b32_e32 v25, 7, v9
	v_cndmask_b32_e64 v13, 0, 1, vcc_lo
	v_cmp_eq_u32_e32 vcc_lo, 0x40f, v26
	v_lshrrev_b32_e32 v9, 2, v9
	v_fmac_f16_e32 v29, v84, v6
	v_cmp_eq_u32_e64 s0, 3, v25
	v_and_or_b32 v13, 0xffe, v15, v13
	v_sub_nc_u32_e32 v15, 0x3f1, v30
	v_cndmask_b32_e32 v5, v5, v24, vcc_lo
	v_cmp_lt_i32_e32 vcc_lo, 5, v25
	v_and_or_b32 v18, 0x1ff, v19, v18
	v_or_b32_e32 v26, 0x1000, v13
	v_med3_i32 v15, v15, 0, 13
	v_cvt_f32_f16_e32 v24, v29
	s_or_b32 vcc_lo, s0, vcc_lo
	v_lshrrev_b32_e32 v32, 8, v19
	v_add_co_ci_u32_e32 v9, vcc_lo, 0, v9, vcc_lo
	v_lshrrev_b32_e32 v29, v15, v26
	v_cmp_ne_u32_e32 vcc_lo, 0, v18
	v_cvt_f64_f32_e32 v[24:25], v24
	v_bfe_u32 v33, v19, 20, 11
	v_mul_f16_sdwa v6, v84, v6 dst_sel:DWORD dst_unused:UNUSED_PAD src0_sel:WORD_1 src1_sel:DWORD
	v_lshlrev_b32_e32 v15, v15, v29
	v_cndmask_b32_e64 v18, 0, 1, vcc_lo
	v_cmp_gt_i32_e32 vcc_lo, 31, v28
	v_and_or_b32 v27, 0x8000, v27, v5
	v_fma_f16 v6, v84, v31, -v6
	v_and_or_b32 v18, 0xffe, v32, v18
	v_cndmask_b32_e32 v9, 0x7c00, v9, vcc_lo
	v_sub_nc_u32_e32 v32, 0x3f1, v33
	v_cmp_ne_u32_e32 vcc_lo, v15, v26
	v_add_nc_u32_e32 v26, 0xfffffc10, v30
	v_or_b32_e32 v30, 0x1000, v18
	v_cvt_f32_f16_e32 v5, v6
	v_med3_i32 v32, v32, 0, 13
	v_cndmask_b32_e64 v15, 0, 1, vcc_lo
	v_cmp_ne_u32_e32 vcc_lo, 0, v20
	v_and_b32_e32 v27, 0xffff, v27
	v_cvt_f64_f32_e32 v[5:6], v5
	v_lshrrev_b32_e32 v34, v32, v30
	v_or_b32_e32 v15, v29, v15
	v_cndmask_b32_e64 v20, 0, 1, vcc_lo
	v_lshl_or_b32 v29, v26, 12, v13
	v_cmp_gt_i32_e32 vcc_lo, 1, v26
	v_mul_f64 v[24:25], v[24:25], s[2:3]
	v_lshl_or_b32 v20, v20, 9, 0x7c00
	v_cndmask_b32_e32 v15, v29, v15, vcc_lo
	v_lshlrev_b32_e32 v29, v32, v34
	v_cmp_eq_u32_e32 vcc_lo, 0x40f, v28
	v_add_nc_u32_e32 v28, 0xfffffc10, v33
	v_and_b32_e32 v31, 7, v15
	v_cmp_ne_u32_e64 s0, v29, v30
	v_cndmask_b32_e32 v9, v9, v20, vcc_lo
	v_lshrrev_b32_e32 v20, 16, v21
	v_lshrrev_b32_e32 v15, 2, v15
	v_cmp_lt_i32_e32 vcc_lo, 5, v31
	v_cndmask_b32_e64 v21, 0, 1, s0
	v_cmp_eq_u32_e64 s0, 3, v31
	v_and_or_b32 v9, 0x8000, v20, v9
	v_or_b32_e32 v20, v34, v21
	s_or_b32 vcc_lo, s0, vcc_lo
	v_lshl_or_b32 v21, v28, 12, v18
	v_add_co_ci_u32_e32 v15, vcc_lo, 0, v15, vcc_lo
	v_cmp_gt_i32_e32 vcc_lo, 1, v28
	v_and_or_b32 v24, 0x1ff, v25, v24
	v_lshrrev_b32_e32 v30, 8, v25
	v_bfe_u32 v31, v25, 20, 11
	v_lshl_or_b32 v9, v9, 16, v27
	v_cndmask_b32_e32 v29, v21, v20, vcc_lo
	v_cmp_ne_u32_e32 vcc_lo, 0, v13
	v_mul_f64 v[20:21], v[5:6], s[2:3]
	ds_read2_b32 v[5:6], v89 offset0:64 offset1:160
	v_and_b32_e32 v32, 7, v29
	v_cndmask_b32_e64 v13, 0, 1, vcc_lo
	v_cmp_ne_u32_e32 vcc_lo, 0, v24
	v_lshrrev_b32_e32 v29, 2, v29
	v_cmp_eq_u32_e64 s0, 3, v32
	v_lshl_or_b32 v13, v13, 9, 0x7c00
	v_cndmask_b32_e64 v24, 0, 1, vcc_lo
	v_cmp_gt_i32_e32 vcc_lo, 31, v26
	v_and_or_b32 v24, 0xffe, v30, v24
	v_cndmask_b32_e32 v15, 0x7c00, v15, vcc_lo
	v_cmp_lt_i32_e32 vcc_lo, 5, v32
	v_sub_nc_u32_e32 v30, 0x3f1, v31
	v_add_nc_u32_e32 v31, 0xfffffc10, v31
	v_or_b32_e32 v32, 0x1000, v24
	s_or_b32 vcc_lo, s0, vcc_lo
	v_med3_i32 v30, v30, 0, 13
	v_add_co_ci_u32_e32 v29, vcc_lo, 0, v29, vcc_lo
	v_cmp_eq_u32_e32 vcc_lo, 0x40f, v26
	v_and_or_b32 v20, 0x1ff, v21, v20
	v_lshrrev_b32_e32 v33, v30, v32
	v_cndmask_b32_e32 v13, v15, v13, vcc_lo
	v_cmp_ne_u32_e32 vcc_lo, 0, v18
	v_lshlrev_b32_e32 v18, v30, v33
	v_bfe_u32 v30, v21, 20, 11
	v_and_or_b32 v27, 0x8000, v14, v13
	v_cndmask_b32_e64 v15, 0, 1, vcc_lo
	v_cmp_gt_i32_e32 vcc_lo, 31, v28
	v_and_b32_e32 v27, 0xffff, v27
	v_lshl_or_b32 v15, v15, 9, 0x7c00
	v_cndmask_b32_e32 v26, 0x7c00, v29, vcc_lo
	s_waitcnt lgkmcnt(0)
	v_lshrrev_b32_e32 v29, 16, v6
	v_cmp_ne_u32_e32 vcc_lo, 0, v20
	v_lshrrev_b32_e32 v20, 8, v21
	v_mul_f16_sdwa v13, v85, v29 dst_sel:DWORD dst_unused:UNUSED_PAD src0_sel:WORD_1 src1_sel:DWORD
	v_cndmask_b32_e64 v14, 0, 1, vcc_lo
	v_cmp_ne_u32_e32 vcc_lo, v18, v32
	v_lshl_or_b32 v32, v31, 12, v24
	v_fmac_f16_e32 v13, v85, v6
	v_and_or_b32 v20, 0xffe, v20, v14
	v_cndmask_b32_e64 v18, 0, 1, vcc_lo
	v_cmp_eq_u32_e32 vcc_lo, 0x40f, v28
	v_sub_nc_u32_e32 v14, 0x3f1, v30
	v_cvt_f32_f16_e32 v13, v13
	v_mul_f16_sdwa v6, v85, v6 dst_sel:DWORD dst_unused:UNUSED_PAD src0_sel:WORD_1 src1_sel:DWORD
	v_or_b32_e32 v18, v33, v18
	v_cndmask_b32_e32 v15, v26, v15, vcc_lo
	v_cmp_gt_i32_e32 vcc_lo, 1, v31
	v_med3_i32 v34, v14, 0, 13
	v_cvt_f64_f32_e32 v[13:14], v13
	v_or_b32_e32 v33, 0x1000, v20
	v_lshrrev_b32_e32 v26, 16, v19
	v_cndmask_b32_e32 v28, v32, v18, vcc_lo
	v_add_co_u32 v18, vcc_lo, v22, s5
	v_lshrrev_b32_e32 v32, v34, v33
	v_and_or_b32 v15, 0x8000, v26, v15
	v_and_b32_e32 v26, 7, v28
	v_fma_f16 v2, v85, v29, -v6
	v_add_co_ci_u32_e32 v19, vcc_lo, s4, v23, vcc_lo
	v_lshlrev_b32_e32 v34, v34, v32
	v_cmp_lt_i32_e32 vcc_lo, 5, v26
	v_cmp_eq_u32_e64 s0, 3, v26
	v_cvt_f32_f16_e32 v2, v2
	v_lshrrev_b32_e32 v28, 2, v28
	v_cmp_ne_u32_e64 s1, v34, v33
	v_add_nc_u32_e32 v26, 0xfffffc10, v30
	s_or_b32 vcc_lo, s0, vcc_lo
	v_cvt_f64_f32_e32 v[22:23], v2
	v_add_co_ci_u32_e32 v2, vcc_lo, 0, v28, vcc_lo
	v_cndmask_b32_e64 v6, 0, 1, s1
	v_cmp_ne_u32_e32 vcc_lo, 0, v24
	v_mul_f64 v[13:14], v[13:14], s[2:3]
	v_lshl_or_b32 v29, v26, 12, v20
	global_store_dword v[18:19], v9, off
	v_or_b32_e32 v6, v32, v6
	v_cndmask_b32_e64 v24, 0, 1, vcc_lo
	v_cmp_gt_i32_e32 vcc_lo, 1, v26
	v_lshl_or_b32 v9, v15, 16, v27
	v_lshrrev_b32_e32 v28, 16, v12
	v_cmp_eq_u32_e64 s1, 0x40f, v31
	v_lshl_or_b32 v15, v24, 9, 0x7c00
	v_cndmask_b32_e32 v6, v29, v6, vcc_lo
	v_cmp_gt_i32_e32 vcc_lo, 31, v31
	v_mul_f16_sdwa v27, v83, v28 dst_sel:DWORD dst_unused:UNUSED_PAD src0_sel:WORD_1 src1_sel:DWORD
	v_lshrrev_b32_e32 v33, 16, v21
	v_and_b32_e32 v24, 7, v6
	v_cndmask_b32_e32 v2, 0x7c00, v2, vcc_lo
	v_add_co_u32 v18, vcc_lo, v18, s5
	v_add_co_ci_u32_e32 v19, vcc_lo, s4, v19, vcc_lo
	v_cmp_lt_i32_e32 vcc_lo, 5, v24
	v_cmp_eq_u32_e64 s0, 3, v24
	v_mul_f64 v[22:23], v[22:23], s[2:3]
	v_lshrrev_b32_e32 v6, 2, v6
	v_and_or_b32 v13, 0x1ff, v14, v13
	v_lshrrev_b32_e32 v24, 8, v14
	s_or_b32 vcc_lo, s0, vcc_lo
	v_bfe_u32 v29, v14, 20, 11
	v_add_co_ci_u32_e32 v6, vcc_lo, 0, v6, vcc_lo
	v_cmp_ne_u32_e32 vcc_lo, 0, v13
	v_fmac_f16_e32 v27, v83, v12
	v_cndmask_b32_e64 v2, v2, v15, s1
	v_lshrrev_b32_e32 v15, 16, v25
	v_mul_f16_sdwa v12, v83, v12 dst_sel:DWORD dst_unused:UNUSED_PAD src0_sel:WORD_1 src1_sel:DWORD
	v_cndmask_b32_e64 v13, 0, 1, vcc_lo
	v_cmp_ne_u32_e32 vcc_lo, 0, v20
	v_cvt_f32_f16_e32 v27, v27
	v_and_or_b32 v15, 0x8000, v15, v2
	v_fma_f16 v12, v83, v28, -v12
	v_and_or_b32 v13, 0xffe, v24, v13
	v_cndmask_b32_e64 v20, 0, 1, vcc_lo
	v_sub_nc_u32_e32 v24, 0x3f1, v29
	v_cmp_gt_i32_e32 vcc_lo, 31, v26
	v_and_or_b32 v22, 0x1ff, v23, v22
	v_or_b32_e32 v30, 0x1000, v13
	v_lshl_or_b32 v20, v20, 9, 0x7c00
	v_med3_i32 v31, v24, 0, 13
	v_cndmask_b32_e32 v6, 0x7c00, v6, vcc_lo
	v_cmp_eq_u32_e32 vcc_lo, 0x40f, v26
	v_mad_u64_u32 v[24:25], null, s8, v78, 0
	v_lshrrev_b32_e32 v32, v31, v30
	v_cvt_f64_f32_e32 v[26:27], v27
	v_cndmask_b32_e32 v6, v6, v20, vcc_lo
	v_cmp_ne_u32_e32 vcc_lo, 0, v22
	v_bfe_u32 v34, v23, 20, 11
	v_lshlrev_b32_e32 v31, v31, v32
	v_mov_b32_e32 v2, v25
	v_lshrrev_b32_e32 v25, 8, v23
	v_cndmask_b32_e64 v22, 0, 1, vcc_lo
	v_add_nc_u32_e32 v29, 0xfffffc10, v29
	v_cmp_ne_u32_e32 vcc_lo, v31, v30
	v_mad_u64_u32 v[20:21], null, s9, v78, v[2:3]
	v_and_or_b32 v2, 0xffe, v25, v22
	v_sub_nc_u32_e32 v21, 0x3f1, v34
	v_cndmask_b32_e64 v22, 0, 1, vcc_lo
	v_and_or_b32 v6, 0x8000, v33, v6
	v_cmp_gt_i32_e32 vcc_lo, 1, v29
	v_or_b32_e32 v30, 0x1000, v2
	v_med3_i32 v31, v21, 0, 13
	v_or_b32_e32 v22, v32, v22
	v_lshl_or_b32 v32, v29, 12, v13
	v_mov_b32_e32 v25, v20
	v_mul_f64 v[20:21], v[26:27], s[2:3]
	v_lshrrev_b32_e32 v33, v31, v30
	v_cvt_f32_f16_e32 v12, v12
	v_cndmask_b32_e32 v22, v32, v22, vcc_lo
	v_and_b32_e32 v15, 0xffff, v15
	global_store_dword v[18:19], v9, off
	v_lshlrev_b32_e32 v26, v31, v33
	v_lshlrev_b64 v[24:25], 2, v[24:25]
	v_and_b32_e32 v9, 7, v22
	v_lshl_or_b32 v6, v6, 16, v15
	v_lshrrev_b32_e32 v14, 16, v14
	v_cmp_ne_u32_e32 vcc_lo, v26, v30
	v_cvt_f64_f32_e32 v[26:27], v12
	v_cmp_eq_u32_e64 s0, 3, v9
	v_add_nc_u32_e32 v30, 0xfffffc10, v34
	v_add_co_u32 v24, s1, v17, v24
	v_cndmask_b32_e64 v15, 0, 1, vcc_lo
	v_cmp_lt_i32_e32 vcc_lo, 5, v9
	v_lshrrev_b32_e32 v9, 2, v22
	v_add_co_ci_u32_e64 v25, s1, v16, v25, s1
	v_or_b32_e32 v12, v33, v15
	s_or_b32 vcc_lo, s0, vcc_lo
	v_lshl_or_b32 v15, v30, 12, v2
	v_add_co_ci_u32_e32 v9, vcc_lo, 0, v9, vcc_lo
	v_cmp_gt_i32_e32 vcc_lo, 1, v30
	v_and_or_b32 v20, 0x1ff, v21, v20
	v_lshrrev_b32_e32 v28, 8, v21
	v_bfe_u32 v31, v21, 20, 11
	v_cmp_eq_u32_e64 s1, 0x40f, v29
	v_cndmask_b32_e32 v15, v15, v12, vcc_lo
	v_cmp_ne_u32_e32 vcc_lo, 0, v13
	ds_read2_b32 v[12:13], v82 offset0:128 offset1:224
	v_mul_f64 v[26:27], v[26:27], s[2:3]
	global_store_dword v[24:25], v6, off
	v_and_b32_e32 v32, 7, v15
	v_cndmask_b32_e64 v22, 0, 1, vcc_lo
	v_cmp_ne_u32_e32 vcc_lo, 0, v20
	v_lshrrev_b32_e32 v15, 2, v15
	v_lshrrev_b32_e32 v21, 16, v21
	v_cmp_eq_u32_e64 s0, 3, v32
	v_lshl_or_b32 v22, v22, 9, 0x7c00
	v_cndmask_b32_e64 v20, 0, 1, vcc_lo
	v_cmp_gt_i32_e32 vcc_lo, 31, v29
	v_and_or_b32 v20, 0xffe, v28, v20
	v_cndmask_b32_e32 v9, 0x7c00, v9, vcc_lo
	v_cmp_lt_i32_e32 vcc_lo, 5, v32
	v_sub_nc_u32_e32 v28, 0x3f1, v31
	v_add_nc_u32_e32 v31, 0xfffffc10, v31
	v_or_b32_e32 v32, 0x1000, v20
	s_waitcnt lgkmcnt(0)
	v_lshrrev_b32_e32 v33, 16, v12
	s_or_b32 vcc_lo, s0, vcc_lo
	v_med3_i32 v28, v28, 0, 13
	v_add_co_ci_u32_e32 v15, vcc_lo, 0, v15, vcc_lo
	v_cmp_ne_u32_e32 vcc_lo, 0, v2
	v_cndmask_b32_e64 v9, v9, v22, s1
	v_lshrrev_b32_e32 v22, v28, v32
	v_mul_f16_sdwa v29, v81, v33 dst_sel:DWORD dst_unused:UNUSED_PAD src0_sel:WORD_1 src1_sel:DWORD
	v_and_or_b32 v26, 0x1ff, v27, v26
	v_cndmask_b32_e64 v2, 0, 1, vcc_lo
	v_cmp_gt_i32_e32 vcc_lo, 31, v30
	v_lshlrev_b32_e32 v28, v28, v22
	v_fmac_f16_e32 v29, v81, v12
	v_lshrrev_b32_e32 v34, 8, v27
	v_bfe_u32 v35, v27, 20, 11
	v_cndmask_b32_e32 v15, 0x7c00, v15, vcc_lo
	v_cmp_ne_u32_e32 vcc_lo, 0, v26
	v_cvt_f32_f16_e32 v29, v29
	v_mul_f16_sdwa v12, v81, v12 dst_sel:DWORD dst_unused:UNUSED_PAD src0_sel:WORD_1 src1_sel:DWORD
	v_lshl_or_b32 v2, v2, 9, 0x7c00
	v_and_or_b32 v9, 0x8000, v14, v9
	v_cndmask_b32_e64 v26, 0, 1, vcc_lo
	v_cmp_ne_u32_e32 vcc_lo, v28, v32
	v_cvt_f64_f32_e32 v[28:29], v29
	v_fma_f16 v12, v81, v33, -v12
	v_and_b32_e32 v9, 0xffff, v9
	v_and_or_b32 v26, 0xffe, v34, v26
	v_cndmask_b32_e64 v32, 0, 1, vcc_lo
	v_sub_nc_u32_e32 v34, 0x3f1, v35
	v_cmp_gt_i32_e32 vcc_lo, 1, v31
	v_cvt_f32_f16_e32 v12, v12
	v_or_b32_e32 v36, 0x1000, v26
	v_or_b32_e32 v22, v22, v32
	v_lshl_or_b32 v32, v31, 12, v20
	v_med3_i32 v34, v34, 0, 13
	v_cndmask_b32_e32 v32, v32, v22, vcc_lo
	v_cmp_eq_u32_e32 vcc_lo, 0x40f, v30
	v_lshrrev_b32_e32 v30, v34, v36
	v_lshrrev_b32_e32 v22, 16, v23
	v_and_b32_e32 v23, 7, v32
	v_cndmask_b32_e32 v2, v15, v2, vcc_lo
	v_cvt_f64_f32_e32 v[14:15], v12
	v_lshlrev_b32_e32 v12, v34, v30
	v_cmp_lt_i32_e32 vcc_lo, 5, v23
	v_cmp_eq_u32_e64 s0, 3, v23
	v_and_or_b32 v2, 0x8000, v22, v2
	v_mul_f64 v[22:23], v[28:29], s[2:3]
	v_lshrrev_b32_e32 v28, 2, v32
	v_cmp_ne_u32_e64 s1, v12, v36
	s_or_b32 vcc_lo, s0, vcc_lo
	v_add_nc_u32_e32 v29, 0xfffffc10, v35
	v_lshl_or_b32 v2, v2, 16, v9
	v_add_co_ci_u32_e32 v28, vcc_lo, 0, v28, vcc_lo
	v_cndmask_b32_e64 v12, 0, 1, s1
	v_cmp_ne_u32_e32 vcc_lo, 0, v20
	v_or_b32_e32 v12, v30, v12
	v_lshl_or_b32 v30, v29, 12, v26
	v_cndmask_b32_e64 v6, 0, 1, vcc_lo
	v_cmp_gt_i32_e32 vcc_lo, 1, v29
	v_mul_f64 v[24:25], v[14:15], s[2:3]
	v_lshl_or_b32 v6, v6, 9, 0x7c00
	v_cndmask_b32_e32 v9, v30, v12, vcc_lo
	v_cmp_gt_i32_e32 vcc_lo, 31, v31
	v_and_or_b32 v22, 0x1ff, v23, v22
	v_and_b32_e32 v20, 7, v9
	v_cndmask_b32_e32 v12, 0x7c00, v28, vcc_lo
	v_add_co_u32 v14, vcc_lo, v18, s7
	v_add_co_ci_u32_e32 v15, vcc_lo, s6, v19, vcc_lo
	v_cmp_eq_u32_e32 vcc_lo, 0x40f, v31
	v_lshrrev_b32_e32 v18, 8, v23
	v_cmp_eq_u32_e64 s0, 3, v20
	global_store_dword v[14:15], v2, off
	v_lshrrev_b32_e32 v9, 2, v9
	v_cndmask_b32_e32 v6, v12, v6, vcc_lo
	v_cmp_ne_u32_e32 vcc_lo, 0, v22
	v_bfe_u32 v22, v23, 20, 11
	v_and_or_b32 v2, 0x1ff, v25, v24
	v_lshrrev_b32_e32 v24, 8, v25
	v_bfe_u32 v28, v25, 20, 11
	v_cndmask_b32_e64 v12, 0, 1, vcc_lo
	v_cmp_lt_i32_e32 vcc_lo, 5, v20
	v_cmp_ne_u32_e64 s1, 0, v2
	v_lshrrev_b32_e32 v20, 16, v11
	v_and_or_b32 v6, 0x8000, v21, v6
	v_and_or_b32 v12, 0xffe, v18, v12
	v_sub_nc_u32_e32 v18, 0x3f1, v22
	s_or_b32 vcc_lo, s0, vcc_lo
	v_cndmask_b32_e64 v2, 0, 1, s1
	v_add_co_ci_u32_e32 v9, vcc_lo, 0, v9, vcc_lo
	v_or_b32_e32 v19, 0x1000, v12
	v_med3_i32 v18, v18, 0, 13
	v_cmp_ne_u32_e32 vcc_lo, 0, v26
	v_mul_f16_sdwa v31, v80, v20 dst_sel:DWORD dst_unused:UNUSED_PAD src0_sel:WORD_1 src1_sel:DWORD
	v_and_or_b32 v2, 0xffe, v24, v2
	v_sub_nc_u32_e32 v24, 0x3f1, v28
	v_lshrrev_b32_e32 v30, v18, v19
	v_cndmask_b32_e64 v26, 0, 1, vcc_lo
	v_cmp_gt_i32_e32 vcc_lo, 31, v29
	v_fmac_f16_e32 v31, v80, v11
	v_or_b32_e32 v32, 0x1000, v2
	v_lshlrev_b32_e32 v18, v18, v30
	v_med3_i32 v24, v24, 0, 13
	v_cndmask_b32_e32 v9, 0x7c00, v9, vcc_lo
	v_cvt_f32_f16_e32 v31, v31
	v_lshl_or_b32 v26, v26, 9, 0x7c00
	v_cmp_ne_u32_e32 vcc_lo, v18, v19
	v_lshrrev_b32_e32 v33, v24, v32
	v_add_nc_u32_e32 v22, 0xfffffc10, v22
	v_cvt_f64_f32_e32 v[18:19], v31
	v_mul_f16_sdwa v11, v80, v11 dst_sel:DWORD dst_unused:UNUSED_PAD src0_sel:WORD_1 src1_sel:DWORD
	v_cndmask_b32_e64 v34, 0, 1, vcc_lo
	v_cmp_eq_u32_e32 vcc_lo, 0x40f, v29
	v_lshlrev_b32_e32 v21, v24, v33
	v_and_b32_e32 v6, 0xffff, v6
	v_fma_f16 v11, v80, v20, -v11
	v_or_b32_e32 v24, v30, v34
	v_cndmask_b32_e32 v9, v9, v26, vcc_lo
	v_lshrrev_b32_e32 v26, 16, v27
	v_lshl_or_b32 v27, v22, 12, v12
	v_cmp_gt_i32_e32 vcc_lo, 1, v22
	v_cvt_f32_f16_e32 v11, v11
	s_mul_i32 s1, s9, 0xffffd900
	v_and_or_b32 v9, 0x8000, v26, v9
	v_add_nc_u32_e32 v26, 0xfffffc10, v28
	v_cndmask_b32_e32 v24, v27, v24, vcc_lo
	v_cmp_ne_u32_e32 vcc_lo, v21, v32
	s_sub_i32 s10, s1, s8
	v_lshl_or_b32 v6, v9, 16, v6
	v_lshl_or_b32 v28, v26, 12, v2
	v_and_b32_e32 v9, 7, v24
	v_cndmask_b32_e64 v21, 0, 1, vcc_lo
	v_cmp_gt_i32_e32 vcc_lo, 1, v26
	v_mul_f64 v[18:19], v[18:19], s[2:3]
	v_cmp_gt_i32_e64 s1, 31, v22
	v_cmp_eq_u32_e64 s0, 3, v9
	v_or_b32_e32 v27, v33, v21
	v_cvt_f64_f32_e32 v[20:21], v11
	v_mad_u64_u32 v[14:15], null, 0xffffd900, s8, v[14:15]
	v_cndmask_b32_e32 v27, v28, v27, vcc_lo
	v_cmp_lt_i32_e32 vcc_lo, 5, v9
	v_lshrrev_b32_e32 v9, 2, v24
	v_and_b32_e32 v11, 7, v27
	s_or_b32 vcc_lo, s0, vcc_lo
	v_lshrrev_b32_e32 v27, 2, v27
	v_add_co_ci_u32_e32 v9, vcc_lo, 0, v9, vcc_lo
	v_cmp_ne_u32_e32 vcc_lo, 0, v12
	v_cmp_eq_u32_e64 s0, 3, v11
	v_add_nc_u32_e32 v15, s10, v15
	v_cndmask_b32_e64 v9, 0x7c00, v9, s1
	v_and_or_b32 v18, 0x1ff, v19, v18
	v_cndmask_b32_e64 v24, 0, 1, vcc_lo
	v_cmp_lt_i32_e32 vcc_lo, 5, v11
	ds_read2_b32 v[11:12], v79 offset0:64 offset1:160
	v_mul_f64 v[20:21], v[20:21], s[2:3]
	v_bfe_u32 v28, v19, 20, 11
	v_lshl_or_b32 v24, v24, 9, 0x7c00
	s_or_b32 vcc_lo, s0, vcc_lo
	global_store_dword v[14:15], v6, off
	v_add_co_ci_u32_e32 v27, vcc_lo, 0, v27, vcc_lo
	v_cmp_eq_u32_e32 vcc_lo, 0x40f, v22
	v_lshrrev_b32_e32 v22, 8, v19
	s_mul_i32 s10, s9, 0xffffdd80
	v_cndmask_b32_e32 v9, v9, v24, vcc_lo
	v_cmp_ne_u32_e32 vcc_lo, 0, v18
	v_lshrrev_b32_e32 v24, 16, v23
	v_cndmask_b32_e64 v18, 0, 1, vcc_lo
	v_cmp_ne_u32_e32 vcc_lo, 0, v2
	s_waitcnt lgkmcnt(0)
	v_lshrrev_b32_e32 v29, 16, v11
	v_and_or_b32 v9, 0x8000, v24, v9
	v_and_or_b32 v20, 0x1ff, v21, v20
	;; [unrolled: 1-line block ×3, first 2 shown]
	v_cndmask_b32_e64 v2, 0, 1, vcc_lo
	v_sub_nc_u32_e32 v22, 0x3f1, v28
	v_cmp_gt_i32_e32 vcc_lo, 31, v26
	v_mul_f16_sdwa v30, v77, v29 dst_sel:DWORD dst_unused:UNUSED_PAD src0_sel:WORD_1 src1_sel:DWORD
	v_or_b32_e32 v31, 0x1000, v18
	v_lshl_or_b32 v2, v2, 9, 0x7c00
	v_med3_i32 v32, v22, 0, 13
	v_cndmask_b32_e32 v27, 0x7c00, v27, vcc_lo
	v_cmp_eq_u32_e32 vcc_lo, 0x40f, v26
	v_fmac_f16_e32 v30, v77, v11
	v_mad_u64_u32 v[22:23], null, s8, v74, 0
	v_lshrrev_b32_e32 v33, v32, v31
	v_cndmask_b32_e32 v34, v27, v2, vcc_lo
	v_cmp_ne_u32_e32 vcc_lo, 0, v20
	v_cvt_f32_f16_e32 v2, v30
	v_lshrrev_b32_e32 v27, 8, v21
	v_lshlrev_b32_e32 v26, v32, v33
	v_bfe_u32 v32, v21, 20, 11
	v_cndmask_b32_e64 v20, 0, 1, vcc_lo
	v_lshrrev_b32_e32 v30, 16, v25
	v_cvt_f64_f32_e32 v[24:25], v2
	v_mov_b32_e32 v2, v23
	v_cmp_ne_u32_e32 vcc_lo, v26, v31
	v_and_or_b32 v20, 0xffe, v27, v20
	v_sub_nc_u32_e32 v31, 0x3f1, v32
	v_add_nc_u32_e32 v28, 0xfffffc10, v28
	v_mad_u64_u32 v[26:27], null, s9, v74, v[2:3]
	v_cndmask_b32_e64 v23, 0, 1, vcc_lo
	v_or_b32_e32 v2, 0x1000, v20
	v_med3_i32 v27, v31, 0, 13
	v_mul_f16_sdwa v11, v77, v11 dst_sel:DWORD dst_unused:UNUSED_PAD src0_sel:WORD_1 src1_sel:DWORD
	v_lshl_or_b32 v31, v28, 12, v18
	v_or_b32_e32 v23, v33, v23
	v_cmp_gt_i32_e32 vcc_lo, 1, v28
	v_lshrrev_b32_e32 v33, v27, v2
	v_fma_f16 v11, v77, v29, -v11
	v_and_or_b32 v30, 0x8000, v30, v34
	v_and_b32_e32 v9, 0xffff, v9
	v_cndmask_b32_e32 v29, v31, v23, vcc_lo
	v_lshlrev_b32_e32 v31, v27, v33
	v_cvt_f32_f16_e32 v11, v11
	v_mov_b32_e32 v23, v26
	v_mul_f64 v[24:25], v[24:25], s[2:3]
	v_and_b32_e32 v34, 7, v29
	v_cmp_ne_u32_e32 vcc_lo, v31, v2
	v_cvt_f64_f32_e32 v[26:27], v11
	v_lshrrev_b32_e32 v29, 2, v29
	v_lshlrev_b64 v[22:23], 2, v[22:23]
	v_cmp_eq_u32_e64 s0, 3, v34
	v_cndmask_b32_e64 v2, 0, 1, vcc_lo
	v_cmp_lt_i32_e32 vcc_lo, 5, v34
	v_add_nc_u32_e32 v11, 0xfffffc10, v32
	v_lshl_or_b32 v9, v30, 16, v9
	v_lshrrev_b32_e32 v31, 16, v8
	v_or_b32_e32 v2, v33, v2
	s_or_b32 vcc_lo, s0, vcc_lo
	v_lshl_or_b32 v30, v11, 12, v20
	v_add_co_ci_u32_e32 v29, vcc_lo, 0, v29, vcc_lo
	v_cmp_ne_u32_e32 vcc_lo, 0, v18
	v_lshrrev_b32_e32 v33, 16, v19
	v_lshrrev_b32_e32 v21, 16, v21
	v_cndmask_b32_e64 v18, 0, 1, vcc_lo
	v_add_co_u32 v22, vcc_lo, v17, v22
	v_add_co_ci_u32_e32 v23, vcc_lo, v16, v23, vcc_lo
	v_cmp_gt_i32_e32 vcc_lo, 1, v11
	v_mul_f64 v[26:27], v[26:27], s[2:3]
	v_and_or_b32 v24, 0x1ff, v25, v24
	v_lshl_or_b32 v18, v18, 9, 0x7c00
	global_store_dword v[22:23], v9, off
	v_cndmask_b32_e32 v2, v30, v2, vcc_lo
	v_cmp_gt_i32_e32 vcc_lo, 31, v28
	v_bfe_u32 v30, v25, 20, 11
	v_mul_f16_sdwa v23, v75, v31 dst_sel:DWORD dst_unused:UNUSED_PAD src0_sel:WORD_1 src1_sel:DWORD
	v_and_b32_e32 v9, 7, v2
	v_cndmask_b32_e32 v29, 0x7c00, v29, vcc_lo
	v_cmp_ne_u32_e32 vcc_lo, 0, v24
	v_lshrrev_b32_e32 v24, 8, v25
	v_lshrrev_b32_e32 v2, 2, v2
	v_cmp_eq_u32_e64 s0, 3, v9
	v_sub_nc_u32_e32 v22, 0x3f1, v30
	v_cndmask_b32_e64 v6, 0, 1, vcc_lo
	v_cmp_eq_u32_e32 vcc_lo, 0x40f, v28
	v_fmac_f16_e32 v23, v75, v8
	v_mul_f16_sdwa v8, v75, v8 dst_sel:DWORD dst_unused:UNUSED_PAD src0_sel:WORD_1 src1_sel:DWORD
	v_med3_i32 v22, v22, 0, 13
	v_and_or_b32 v6, 0xffe, v24, v6
	v_cndmask_b32_e32 v24, v29, v18, vcc_lo
	v_cmp_lt_i32_e32 vcc_lo, 5, v9
	v_and_or_b32 v26, 0x1ff, v27, v26
	v_cvt_f32_f16_e32 v23, v23
	v_or_b32_e32 v18, 0x1000, v6
	v_lshrrev_b32_e32 v29, 8, v27
	s_or_b32 vcc_lo, s0, vcc_lo
	v_bfe_u32 v32, v27, 20, 11
	v_add_co_ci_u32_e32 v2, vcc_lo, 0, v2, vcc_lo
	v_cmp_ne_u32_e32 vcc_lo, 0, v26
	v_lshrrev_b32_e32 v9, v22, v18
	v_fma_f16 v8, v75, v31, -v8
	v_and_or_b32 v24, 0x8000, v33, v24
	v_lshrrev_b32_e32 v25, 16, v25
	v_cndmask_b32_e64 v26, 0, 1, vcc_lo
	v_cmp_ne_u32_e32 vcc_lo, 0, v20
	v_lshlrev_b32_e32 v28, v22, v9
	v_cvt_f64_f32_e32 v[22:23], v23
	v_cvt_f32_f16_e32 v8, v8
	v_and_or_b32 v26, 0xffe, v29, v26
	v_cndmask_b32_e64 v20, 0, 1, vcc_lo
	v_cmp_gt_i32_e32 vcc_lo, 31, v11
	v_add_nc_u32_e32 v29, 0xfffffc10, v30
	v_and_b32_e32 v24, 0xffff, v24
	v_or_b32_e32 v30, 0x1000, v26
	v_lshl_or_b32 v20, v20, 9, 0x7c00
	v_cndmask_b32_e32 v2, 0x7c00, v2, vcc_lo
	v_cmp_ne_u32_e32 vcc_lo, v28, v18
	v_sub_nc_u32_e32 v28, 0x3f1, v32
	v_cndmask_b32_e64 v18, 0, 1, vcc_lo
	v_cmp_gt_i32_e32 vcc_lo, 1, v29
	v_med3_i32 v28, v28, 0, 13
	v_or_b32_e32 v9, v9, v18
	v_lshl_or_b32 v18, v29, 12, v6
	v_lshrrev_b32_e32 v31, v28, v30
	v_cndmask_b32_e32 v9, v18, v9, vcc_lo
	v_mul_f64 v[18:19], v[22:23], s[2:3]
	v_cvt_f64_f32_e32 v[22:23], v8
	v_cmp_eq_u32_e32 vcc_lo, 0x40f, v11
	v_and_b32_e32 v11, 7, v9
	v_cndmask_b32_e32 v2, v2, v20, vcc_lo
	v_lshlrev_b32_e32 v20, v28, v31
	v_cmp_lt_i32_e32 vcc_lo, 5, v11
	v_cmp_eq_u32_e64 s0, 3, v11
	v_lshrrev_b32_e32 v11, 2, v9
	ds_read2_b32 v[8:9], v76 offset1:96
	v_cmp_ne_u32_e64 s1, v20, v30
	v_add_nc_u32_e32 v28, 0xfffffc10, v32
	s_or_b32 vcc_lo, s0, vcc_lo
	v_and_or_b32 v2, 0x8000, v21, v2
	v_add_co_ci_u32_e32 v11, vcc_lo, 0, v11, vcc_lo
	v_cmp_ne_u32_e32 vcc_lo, 0, v6
	v_cndmask_b32_e64 v20, 0, 1, s1
	v_lshl_or_b32 v2, v2, 16, v24
	v_and_or_b32 v18, 0x1ff, v19, v18
	v_add_co_u32 v14, s1, v14, s7
	v_cndmask_b32_e64 v6, 0, 1, vcc_lo
	v_cmp_gt_i32_e32 vcc_lo, 31, v29
	v_or_b32_e32 v30, v31, v20
	v_mul_f64 v[20:21], v[22:23], s[2:3]
	v_lshl_or_b32 v31, v28, 12, v26
	v_lshl_or_b32 v6, v6, 9, 0x7c00
	v_cndmask_b32_e32 v11, 0x7c00, v11, vcc_lo
	v_cmp_gt_i32_e32 vcc_lo, 1, v28
	v_lshrrev_b32_e32 v23, 8, v19
	s_waitcnt lgkmcnt(0)
	v_lshrrev_b32_e32 v32, 16, v8
	v_add_co_ci_u32_e64 v15, s1, s6, v15, s1
	v_cndmask_b32_e32 v22, v31, v30, vcc_lo
	v_cmp_ne_u32_e32 vcc_lo, 0, v18
	v_bfe_u32 v30, v19, 20, 11
	global_store_dword v[14:15], v2, off
	v_and_b32_e32 v31, 7, v22
	v_cndmask_b32_e64 v18, 0, 1, vcc_lo
	v_cmp_eq_u32_e32 vcc_lo, 0x40f, v29
	v_lshrrev_b32_e32 v22, 2, v22
	v_cmp_eq_u32_e64 s0, 3, v31
	v_and_or_b32 v18, 0xffe, v23, v18
	v_sub_nc_u32_e32 v23, 0x3f1, v30
	v_cndmask_b32_e32 v6, v11, v6, vcc_lo
	v_mul_f16_sdwa v11, v73, v32 dst_sel:DWORD dst_unused:UNUSED_PAD src0_sel:WORD_1 src1_sel:DWORD
	v_cmp_lt_i32_e32 vcc_lo, 5, v31
	v_or_b32_e32 v29, 0x1000, v18
	v_med3_i32 v23, v23, 0, 13
	v_and_or_b32 v20, 0x1ff, v21, v20
	v_fmac_f16_e32 v11, v73, v8
	s_or_b32 vcc_lo, s0, vcc_lo
	v_and_or_b32 v6, 0x8000, v25, v6
	v_add_co_ci_u32_e32 v33, vcc_lo, 0, v22, vcc_lo
	v_lshrrev_b32_e32 v31, v23, v29
	v_cvt_f32_f16_e32 v11, v11
	v_cmp_ne_u32_e32 vcc_lo, 0, v20
	v_lshrrev_b32_e32 v20, 8, v21
	v_bfe_u32 v34, v21, 20, 11
	v_lshlrev_b32_e32 v25, v23, v31
	v_cvt_f64_f32_e32 v[22:23], v11
	v_cndmask_b32_e64 v11, 0, 1, vcc_lo
	v_cmp_gt_i32_e32 vcc_lo, 31, v28
	v_mul_f16_sdwa v8, v73, v8 dst_sel:DWORD dst_unused:UNUSED_PAD src0_sel:WORD_1 src1_sel:DWORD
	v_and_b32_e32 v6, 0xffff, v6
	v_and_or_b32 v11, 0xffe, v20, v11
	v_cndmask_b32_e32 v33, 0x7c00, v33, vcc_lo
	v_cmp_ne_u32_e32 vcc_lo, 0, v26
	v_sub_nc_u32_e32 v20, 0x3f1, v34
	v_fma_f16 v8, v73, v32, -v8
	v_lshrrev_b32_e32 v32, 16, v19
	v_cndmask_b32_e64 v26, 0, 1, vcc_lo
	v_cmp_ne_u32_e32 vcc_lo, v25, v29
	v_add_nc_u32_e32 v29, 0xfffffc10, v30
	v_or_b32_e32 v30, 0x1000, v11
	v_med3_i32 v20, v20, 0, 13
	v_lshl_or_b32 v26, v26, 9, 0x7c00
	v_cndmask_b32_e64 v25, 0, 1, vcc_lo
	v_cmp_eq_u32_e32 vcc_lo, 0x40f, v28
	v_cvt_f32_f16_e32 v8, v8
	v_lshrrev_b32_e32 v28, v20, v30
	v_mul_f64 v[22:23], v[22:23], s[2:3]
	v_or_b32_e32 v25, v31, v25
	v_lshl_or_b32 v31, v29, 12, v18
	v_cndmask_b32_e32 v26, v33, v26, vcc_lo
	v_cmp_gt_i32_e32 vcc_lo, 1, v29
	v_lshlrev_b32_e32 v20, v20, v28
	v_cmp_eq_u32_e64 s1, 0x40f, v29
	v_cndmask_b32_e32 v31, v31, v25, vcc_lo
	v_lshrrev_b32_e32 v25, 16, v27
	v_cmp_ne_u32_e64 s0, v20, v30
	v_add_nc_u32_e32 v30, 0xfffffc10, v34
	v_and_b32_e32 v27, 7, v31
	v_and_or_b32 v26, 0x8000, v25, v26
	v_cndmask_b32_e64 v20, 0, 1, s0
	v_cvt_f64_f32_e32 v[24:25], v8
	v_lshrrev_b32_e32 v8, 2, v31
	v_cmp_lt_i32_e32 vcc_lo, 5, v27
	v_cmp_eq_u32_e64 s0, 3, v27
	v_or_b32_e32 v20, v28, v20
	v_lshl_or_b32 v27, v30, 12, v11
	v_and_or_b32 v22, 0x1ff, v23, v22
	v_lshl_or_b32 v6, v26, 16, v6
	s_or_b32 vcc_lo, s0, vcc_lo
	v_lshrrev_b32_e32 v26, 8, v23
	v_add_co_ci_u32_e32 v8, vcc_lo, 0, v8, vcc_lo
	v_cmp_gt_i32_e32 vcc_lo, 1, v30
	v_lshrrev_b32_e32 v31, 16, v10
	v_cndmask_b32_e32 v20, v27, v20, vcc_lo
	v_cmp_ne_u32_e32 vcc_lo, 0, v18
	v_bfe_u32 v27, v23, 20, 11
	v_mul_f64 v[24:25], v[24:25], s[2:3]
	v_cndmask_b32_e64 v18, 0, 1, vcc_lo
	v_cmp_ne_u32_e32 vcc_lo, 0, v22
	v_and_b32_e32 v28, 7, v20
	v_lshl_or_b32 v18, v18, 9, 0x7c00
	v_cndmask_b32_e64 v22, 0, 1, vcc_lo
	v_cmp_gt_i32_e32 vcc_lo, 31, v29
	v_cmp_eq_u32_e64 s0, 3, v28
	v_mul_f16_sdwa v29, v72, v31 dst_sel:DWORD dst_unused:UNUSED_PAD src0_sel:WORD_1 src1_sel:DWORD
	v_and_or_b32 v22, 0xffe, v26, v22
	v_cndmask_b32_e32 v8, 0x7c00, v8, vcc_lo
	v_cmp_lt_i32_e32 vcc_lo, 5, v28
	v_sub_nc_u32_e32 v26, 0x3f1, v27
	v_fmac_f16_e32 v29, v72, v10
	v_or_b32_e32 v28, 0x1000, v22
	v_cndmask_b32_e64 v8, v8, v18, s1
	v_lshrrev_b32_e32 v18, 2, v20
	s_or_b32 vcc_lo, s0, vcc_lo
	v_med3_i32 v26, v26, 0, 13
	v_and_or_b32 v24, 0x1ff, v25, v24
	v_bfe_u32 v34, v25, 20, 11
	v_add_co_ci_u32_e32 v18, vcc_lo, 0, v18, vcc_lo
	v_cmp_ne_u32_e32 vcc_lo, 0, v11
	v_lshrrev_b32_e32 v20, v26, v28
	v_and_or_b32 v8, 0x8000, v32, v8
	v_mul_f16_sdwa v10, v72, v10 dst_sel:DWORD dst_unused:UNUSED_PAD src0_sel:WORD_1 src1_sel:DWORD
	v_cndmask_b32_e64 v11, 0, 1, vcc_lo
	v_cmp_gt_i32_e32 vcc_lo, 31, v30
	v_lshlrev_b32_e32 v26, v26, v20
	v_fma_f16 v2, v72, v31, -v10
	v_and_b32_e32 v8, 0xffff, v8
	v_lshl_or_b32 v11, v11, 9, 0x7c00
	v_cndmask_b32_e32 v33, 0x7c00, v18, vcc_lo
	v_cmp_ne_u32_e32 vcc_lo, 0, v24
	v_cvt_f32_f16_e32 v18, v29
	v_lshrrev_b32_e32 v29, 8, v25
	v_cvt_f32_f16_e32 v2, v2
	v_cndmask_b32_e64 v24, 0, 1, vcc_lo
	v_cvt_f64_f32_e32 v[18:19], v18
	v_cmp_ne_u32_e32 vcc_lo, v26, v28
	v_add_nc_u32_e32 v28, 0xfffffc10, v27
	v_sub_nc_u32_e32 v27, 0x3f1, v34
	v_and_or_b32 v24, 0xffe, v29, v24
	v_cndmask_b32_e64 v26, 0, 1, vcc_lo
	v_cmp_eq_u32_e32 vcc_lo, 0x40f, v30
	v_med3_i32 v27, v27, 0, 13
	v_or_b32_e32 v29, 0x1000, v24
	v_lshrrev_b32_e32 v30, 16, v21
	v_or_b32_e32 v20, v20, v26
	v_lshl_or_b32 v26, v28, 12, v22
	v_cndmask_b32_e32 v11, v33, v11, vcc_lo
	v_cmp_gt_i32_e32 vcc_lo, 1, v28
	v_lshrrev_b32_e32 v32, v27, v29
	v_cmp_eq_u32_e64 s1, 0x40f, v28
	v_and_or_b32 v11, 0x8000, v30, v11
	v_cndmask_b32_e32 v26, v26, v20, vcc_lo
	v_lshlrev_b32_e32 v27, v27, v32
	v_add_co_u32 v20, vcc_lo, v14, s5
	v_add_co_ci_u32_e32 v21, vcc_lo, s4, v15, vcc_lo
	v_and_b32_e32 v30, 7, v26
	v_cmp_ne_u32_e64 s0, v27, v29
	v_mul_f64 v[18:19], v[18:19], s[2:3]
	global_store_dword v[20:21], v6, off
	v_lshrrev_b32_e32 v10, 2, v26
	v_cmp_lt_i32_e32 vcc_lo, 5, v30
	v_cndmask_b32_e64 v6, 0, 1, s0
	v_cmp_eq_u32_e64 s0, 3, v30
	v_add_nc_u32_e32 v29, 0xfffffc10, v34
	v_cvt_f64_f32_e32 v[14:15], v2
	v_or_b32_e32 v6, v32, v6
	s_or_b32 vcc_lo, s0, vcc_lo
	v_lshl_or_b32 v2, v29, 12, v24
	v_add_co_ci_u32_e32 v10, vcc_lo, 0, v10, vcc_lo
	v_cmp_ne_u32_e32 vcc_lo, 0, v22
	v_cndmask_b32_e64 v22, 0, 1, vcc_lo
	v_cmp_gt_i32_e32 vcc_lo, 1, v29
	v_and_or_b32 v18, 0x1ff, v19, v18
	v_lshrrev_b32_e32 v26, 8, v19
	v_bfe_u32 v30, v19, 20, 11
	v_cndmask_b32_e32 v2, v2, v6, vcc_lo
	v_cmp_gt_i32_e32 vcc_lo, 31, v28
	v_lshl_or_b32 v6, v11, 16, v8
	v_lshl_or_b32 v22, v22, 9, 0x7c00
	v_sub_nc_u32_e32 v32, 0x3f1, v30
	v_and_b32_e32 v31, 7, v2
	v_cndmask_b32_e32 v8, 0x7c00, v10, vcc_lo
	v_cmp_ne_u32_e32 vcc_lo, 0, v18
	ds_read2_b32 v[10:11], v71 offset0:64 offset1:160
	v_lshrrev_b32_e32 v2, 2, v2
	v_cmp_eq_u32_e64 s0, 3, v31
	v_cndmask_b32_e64 v8, v8, v22, s1
	v_cndmask_b32_e64 v18, 0, 1, vcc_lo
	v_add_nc_u32_e32 v30, 0xfffffc10, v30
	v_lshrrev_b32_e32 v19, 16, v19
	v_and_or_b32 v18, 0xffe, v26, v18
	v_mul_f64 v[26:27], v[14:15], s[2:3]
	v_add_co_u32 v14, vcc_lo, v20, s5
	v_add_co_ci_u32_e32 v15, vcc_lo, s4, v21, vcc_lo
	v_cmp_lt_i32_e32 vcc_lo, 5, v31
	v_or_b32_e32 v33, 0x1000, v18
	v_med3_i32 v20, v32, 0, 13
	v_lshrrev_b32_e32 v31, 16, v23
	global_store_dword v[14:15], v6, off
	s_or_b32 vcc_lo, s0, vcc_lo
	v_add_co_ci_u32_e32 v2, vcc_lo, 0, v2, vcc_lo
	v_lshrrev_b32_e32 v28, v20, v33
	v_cmp_ne_u32_e32 vcc_lo, 0, v24
	s_waitcnt lgkmcnt(0)
	v_lshrrev_b32_e32 v24, 16, v10
	v_and_or_b32 v8, 0x8000, v31, v8
	v_lshrrev_b32_e32 v31, 16, v25
	v_lshlrev_b32_e32 v22, v20, v28
	v_cndmask_b32_e64 v21, 0, 1, vcc_lo
	v_cmp_gt_i32_e32 vcc_lo, 31, v29
	v_mul_f16_sdwa v23, v70, v24 dst_sel:DWORD dst_unused:UNUSED_PAD src0_sel:WORD_1 src1_sel:DWORD
	v_and_or_b32 v26, 0x1ff, v27, v26
	v_bfe_u32 v34, v27, 20, 11
	v_lshl_or_b32 v32, v21, 9, 0x7c00
	v_cndmask_b32_e32 v2, 0x7c00, v2, vcc_lo
	v_fmac_f16_e32 v23, v70, v10
	v_cmp_ne_u32_e32 vcc_lo, v22, v33
	v_lshrrev_b32_e32 v33, 8, v27
	v_mul_f16_sdwa v10, v70, v10 dst_sel:DWORD dst_unused:UNUSED_PAD src0_sel:WORD_1 src1_sel:DWORD
	v_mad_u64_u32 v[20:21], null, s8, v67, 0
	v_cndmask_b32_e64 v6, 0, 1, vcc_lo
	v_cvt_f32_f16_e32 v22, v23
	v_cmp_ne_u32_e32 vcc_lo, 0, v26
	v_fma_f16 v10, v70, v24, -v10
	v_and_b32_e32 v8, 0xffff, v8
	v_or_b32_e32 v6, v28, v6
	v_cvt_f64_f32_e32 v[22:23], v22
	v_cndmask_b32_e64 v26, 0, 1, vcc_lo
	v_cmp_eq_u32_e32 vcc_lo, 0x40f, v29
	v_lshl_or_b32 v28, v30, 12, v18
	v_cvt_f32_f16_e32 v10, v10
	v_lshrrev_b32_e32 v27, 16, v27
	v_and_or_b32 v33, 0xffe, v33, v26
	v_cndmask_b32_e32 v29, v2, v32, vcc_lo
	v_cmp_gt_i32_e32 vcc_lo, 1, v30
	v_sub_nc_u32_e32 v26, 0x3f1, v34
	v_mov_b32_e32 v2, v21
	v_cndmask_b32_e32 v6, v28, v6, vcc_lo
	v_or_b32_e32 v28, 0x1000, v33
	v_med3_i32 v26, v26, 0, 13
	v_mad_u64_u32 v[24:25], null, s9, v67, v[2:3]
	v_and_b32_e32 v21, 7, v6
	v_and_or_b32 v2, 0x8000, v31, v29
	v_lshrrev_b32_e32 v32, v26, v28
	v_lshrrev_b32_e32 v6, 2, v6
	v_mul_f64 v[22:23], v[22:23], s[2:3]
	v_cmp_lt_i32_e32 vcc_lo, 5, v21
	v_cmp_eq_u32_e64 s0, 3, v21
	v_lshlrev_b32_e32 v29, v26, v32
	v_cvt_f64_f32_e32 v[25:26], v10
	v_add_nc_u32_e32 v31, 0xfffffc10, v34
	v_mov_b32_e32 v21, v24
	s_or_b32 vcc_lo, s0, vcc_lo
	v_cmp_ne_u32_e64 s1, v29, v28
	v_add_co_ci_u32_e32 v6, vcc_lo, 0, v6, vcc_lo
	v_cmp_ne_u32_e32 vcc_lo, 0, v18
	v_lshl_or_b32 v24, v31, 12, v33
	v_cndmask_b32_e64 v10, 0, 1, s1
	v_lshl_or_b32 v2, v2, 16, v8
	v_lshlrev_b64 v[20:21], 2, v[20:21]
	v_cndmask_b32_e64 v18, 0, 1, vcc_lo
	v_cmp_gt_i32_e32 vcc_lo, 31, v30
	v_or_b32_e32 v10, v32, v10
	v_lshl_or_b32 v18, v18, 9, 0x7c00
	v_cndmask_b32_e32 v6, 0x7c00, v6, vcc_lo
	v_cmp_gt_i32_e32 vcc_lo, 1, v31
	v_and_or_b32 v8, 0x1ff, v23, v22
	v_lshrrev_b32_e32 v22, 8, v23
	v_bfe_u32 v32, v23, 20, 11
	v_cndmask_b32_e32 v10, v24, v10, vcc_lo
	v_mul_f64 v[24:25], v[25:26], s[2:3]
	v_cmp_ne_u32_e32 vcc_lo, 0, v8
	v_lshrrev_b32_e32 v26, 16, v7
	v_sub_nc_u32_e32 v29, 0x3f1, v32
	v_and_b32_e32 v28, 7, v10
	v_lshrrev_b32_e32 v10, 2, v10
	v_cndmask_b32_e64 v8, 0, 1, vcc_lo
	v_add_co_u32 v20, vcc_lo, v17, v20
	v_add_co_ci_u32_e32 v21, vcc_lo, v16, v21, vcc_lo
	v_cmp_eq_u32_e32 vcc_lo, 0x40f, v30
	v_and_or_b32 v22, 0xffe, v22, v8
	v_mul_f16_sdwa v8, v69, v26 dst_sel:DWORD dst_unused:UNUSED_PAD src0_sel:WORD_1 src1_sel:DWORD
	v_cmp_eq_u32_e64 s0, 3, v28
	v_med3_i32 v30, v29, 0, 13
	v_cndmask_b32_e32 v6, v6, v18, vcc_lo
	v_cmp_lt_i32_e32 vcc_lo, 5, v28
	v_fmac_f16_e32 v8, v69, v7
	v_or_b32_e32 v18, 0x1000, v22
	global_store_dword v[20:21], v2, off
	v_and_or_b32 v6, 0x8000, v19, v6
	v_and_or_b32 v24, 0x1ff, v25, v24
	s_or_b32 vcc_lo, s0, vcc_lo
	v_cvt_f32_f16_e32 v8, v8
	v_add_co_ci_u32_e32 v10, vcc_lo, 0, v10, vcc_lo
	v_cmp_ne_u32_e32 vcc_lo, 0, v24
	v_lshrrev_b32_e32 v34, v30, v18
	v_cvt_f64_f32_e32 v[28:29], v8
	v_bfe_u32 v35, v25, 20, 11
	v_and_b32_e32 v6, 0xffff, v6
	v_cndmask_b32_e64 v24, 0, 1, vcc_lo
	v_cmp_ne_u32_e32 vcc_lo, 0, v33
	v_lshlrev_b32_e32 v8, v30, v34
	v_lshrrev_b32_e32 v30, 8, v25
	v_lshrrev_b32_e32 v25, 16, v25
	v_cndmask_b32_e64 v33, 0, 1, vcc_lo
	v_cmp_gt_i32_e32 vcc_lo, 31, v31
	v_and_or_b32 v24, 0xffe, v30, v24
	v_sub_nc_u32_e32 v30, 0x3f1, v35
	v_lshl_or_b32 v33, v33, 9, 0x7c00
	v_cndmask_b32_e32 v10, 0x7c00, v10, vcc_lo
	v_cmp_ne_u32_e32 vcc_lo, v8, v18
	v_or_b32_e32 v36, 0x1000, v24
	v_med3_i32 v18, v30, 0, 13
	v_add_nc_u32_e32 v30, 0xfffffc10, v32
	v_cndmask_b32_e64 v8, 0, 1, vcc_lo
	v_cmp_eq_u32_e32 vcc_lo, 0x40f, v31
	v_mul_f16_sdwa v31, v69, v7 dst_sel:DWORD dst_unused:UNUSED_PAD src0_sel:WORD_1 src1_sel:DWORD
	v_or_b32_e32 v32, v34, v8
	v_cndmask_b32_e32 v10, v10, v33, vcc_lo
	v_lshrrev_b32_e32 v33, v18, v36
	v_fma_f16 v26, v69, v26, -v31
	v_mul_f64 v[7:8], v[28:29], s[2:3]
	v_lshl_or_b32 v28, v30, 12, v22
	v_cmp_gt_i32_e32 vcc_lo, 1, v30
	v_and_or_b32 v10, 0x8000, v27, v10
	v_cvt_f32_f16_e32 v19, v26
	v_lshlrev_b32_e32 v26, v18, v33
	v_add_nc_u32_e32 v29, 0xfffffc10, v35
	v_cndmask_b32_e32 v28, v28, v32, vcc_lo
	v_lshl_or_b32 v10, v10, 16, v6
	v_cvt_f64_f32_e32 v[18:19], v19
	v_cmp_ne_u32_e32 vcc_lo, v26, v36
	v_lshl_or_b32 v20, v29, 12, v24
	v_and_b32_e32 v27, 7, v28
	v_cmp_gt_i32_e64 s1, 1, v29
	v_cndmask_b32_e64 v26, 0, 1, vcc_lo
	v_cmp_lt_i32_e32 vcc_lo, 5, v27
	v_cmp_eq_u32_e64 s0, 3, v27
	v_or_b32_e32 v2, v33, v26
	v_lshrrev_b32_e32 v26, 2, v28
	v_and_or_b32 v21, 0x1ff, v8, v7
	s_or_b32 vcc_lo, s0, vcc_lo
	ds_read2_b32 v[6:7], v68 offset0:128 offset1:224
	v_cndmask_b32_e64 v2, v20, v2, s1
	v_add_co_ci_u32_e32 v20, vcc_lo, 0, v26, vcc_lo
	v_cmp_ne_u32_e32 vcc_lo, 0, v22
	v_lshrrev_b32_e32 v27, 8, v8
	v_and_b32_e32 v26, 7, v2
	v_mul_f64 v[18:19], v[18:19], s[2:3]
	v_lshrrev_b32_e32 v2, 2, v2
	v_cndmask_b32_e64 v22, 0, 1, vcc_lo
	v_cmp_ne_u32_e32 vcc_lo, 0, v21
	v_cmp_eq_u32_e64 s0, 3, v26
	v_bfe_u32 v28, v8, 20, 11
	v_lshrrev_b32_e32 v8, 16, v8
	v_lshl_or_b32 v22, v22, 9, 0x7c00
	v_cndmask_b32_e64 v21, 0, 1, vcc_lo
	v_cmp_gt_i32_e32 vcc_lo, 31, v30
	v_and_or_b32 v27, 0xffe, v27, v21
	v_cndmask_b32_e32 v20, 0x7c00, v20, vcc_lo
	v_cmp_lt_i32_e32 vcc_lo, 5, v26
	v_sub_nc_u32_e32 v21, 0x3f1, v28
	s_waitcnt lgkmcnt(0)
	v_lshrrev_b32_e32 v31, 16, v6
	v_or_b32_e32 v26, 0x1000, v27
	v_add_nc_u32_e32 v28, 0xfffffc10, v28
	s_or_b32 vcc_lo, s0, vcc_lo
	v_med3_i32 v21, v21, 0, 13
	v_add_co_ci_u32_e32 v2, vcc_lo, 0, v2, vcc_lo
	v_cmp_eq_u32_e32 vcc_lo, 0x40f, v30
	v_and_or_b32 v18, 0x1ff, v19, v18
	v_lshrrev_b32_e32 v32, 8, v19
	v_bfe_u32 v33, v19, 20, 11
	v_cndmask_b32_e32 v30, v20, v22, vcc_lo
	v_cmp_ne_u32_e32 vcc_lo, 0, v24
	v_lshrrev_b32_e32 v24, v21, v26
	v_mul_f16_sdwa v20, v66, v31 dst_sel:DWORD dst_unused:UNUSED_PAD src0_sel:WORD_1 src1_sel:DWORD
	v_cndmask_b32_e64 v22, 0, 1, vcc_lo
	v_cmp_gt_i32_e32 vcc_lo, 31, v29
	v_lshlrev_b32_e32 v34, v21, v24
	v_fmac_f16_e32 v20, v66, v6
	v_mul_f16_sdwa v6, v66, v6 dst_sel:DWORD dst_unused:UNUSED_PAD src0_sel:WORD_1 src1_sel:DWORD
	v_lshl_or_b32 v22, v22, 9, 0x7c00
	v_cndmask_b32_e32 v2, 0x7c00, v2, vcc_lo
	v_cmp_ne_u32_e32 vcc_lo, 0, v18
	v_cvt_f32_f16_e32 v20, v20
	v_fma_f16 v6, v66, v31, -v6
	v_lshrrev_b32_e32 v31, 16, v23
	v_cndmask_b32_e64 v18, 0, 1, vcc_lo
	v_cmp_ne_u32_e32 vcc_lo, v34, v26
	v_cvt_f64_f32_e32 v[20:21], v20
	v_cvt_f32_f16_e32 v6, v6
	v_and_or_b32 v18, 0xffe, v32, v18
	v_sub_nc_u32_e32 v32, 0x3f1, v33
	v_cndmask_b32_e64 v26, 0, 1, vcc_lo
	v_cmp_gt_i32_e32 vcc_lo, 1, v28
	v_or_b32_e32 v34, 0x1000, v18
	v_med3_i32 v32, v32, 0, 13
	v_or_b32_e32 v24, v24, v26
	v_lshl_or_b32 v26, v28, 12, v27
	v_lshrrev_b32_e32 v35, v32, v34
	v_cndmask_b32_e32 v24, v26, v24, vcc_lo
	v_cmp_eq_u32_e32 vcc_lo, 0x40f, v29
	v_and_or_b32 v29, 0x8000, v31, v30
	v_lshlrev_b32_e32 v26, v32, v35
	v_lshrrev_b32_e32 v30, 16, v3
	v_cndmask_b32_e32 v2, v2, v22, vcc_lo
	v_cvt_f64_f32_e32 v[22:23], v6
	v_and_b32_e32 v6, 7, v24
	v_cmp_ne_u32_e64 s0, v26, v34
	v_lshrrev_b32_e32 v24, 2, v24
	v_and_or_b32 v2, 0x8000, v25, v2
	v_mul_f64 v[20:21], v[20:21], s[2:3]
	v_cmp_lt_i32_e32 vcc_lo, 5, v6
	v_cndmask_b32_e64 v25, 0, 1, s0
	v_cmp_eq_u32_e64 s0, 3, v6
	v_add_nc_u32_e32 v26, 0xfffffc10, v33
	v_and_b32_e32 v6, 0xffff, v29
	v_or_b32_e32 v25, v35, v25
	s_or_b32 vcc_lo, s0, vcc_lo
	v_lshl_or_b32 v29, v26, 12, v18
	v_add_co_ci_u32_e32 v24, vcc_lo, 0, v24, vcc_lo
	v_cmp_ne_u32_e32 vcc_lo, 0, v27
	v_lshl_or_b32 v2, v2, 16, v6
	v_cndmask_b32_e64 v27, 0, 1, vcc_lo
	v_cmp_gt_i32_e32 vcc_lo, 1, v26
	v_mul_f64 v[22:23], v[22:23], s[2:3]
	v_lshl_or_b32 v27, v27, 9, 0x7c00
	v_cndmask_b32_e32 v25, v29, v25, vcc_lo
	v_add_co_u32 v14, vcc_lo, v14, s7
	v_add_co_ci_u32_e32 v15, vcc_lo, s6, v15, vcc_lo
	v_cmp_gt_i32_e32 vcc_lo, 31, v28
	v_and_b32_e32 v29, 7, v25
	v_and_or_b32 v6, 0x1ff, v21, v20
	global_store_dword v[14:15], v10, off
	v_cndmask_b32_e32 v24, 0x7c00, v24, vcc_lo
	v_cmp_eq_u32_e32 vcc_lo, 0x40f, v28
	v_cmp_eq_u32_e64 s0, 3, v29
	v_cmp_ne_u32_e64 s1, 0, v6
	v_cndmask_b32_e32 v20, v24, v27, vcc_lo
	v_cmp_lt_i32_e32 vcc_lo, 5, v29
	v_lshrrev_b32_e32 v24, 2, v25
	v_cndmask_b32_e64 v6, 0, 1, s1
	v_lshrrev_b32_e32 v25, 8, v21
	v_bfe_u32 v27, v21, 20, 11
	s_or_b32 vcc_lo, s0, vcc_lo
	v_and_or_b32 v22, 0x1ff, v23, v22
	v_add_co_ci_u32_e32 v24, vcc_lo, 0, v24, vcc_lo
	v_cmp_ne_u32_e32 vcc_lo, 0, v18
	v_and_or_b32 v6, 0xffe, v25, v6
	v_sub_nc_u32_e32 v25, 0x3f1, v27
	v_lshrrev_b32_e32 v29, 8, v23
	v_bfe_u32 v31, v23, 20, 11
	v_cndmask_b32_e64 v18, 0, 1, vcc_lo
	v_cmp_gt_i32_e32 vcc_lo, 31, v26
	v_or_b32_e32 v28, 0x1000, v6
	v_med3_i32 v25, v25, 0, 13
	v_sub_nc_u32_e32 v33, 0x3f1, v31
	v_lshl_or_b32 v18, v18, 9, 0x7c00
	v_cndmask_b32_e32 v24, 0x7c00, v24, vcc_lo
	v_cmp_ne_u32_e32 vcc_lo, 0, v22
	v_lshrrev_b32_e32 v32, v25, v28
	v_and_or_b32 v8, 0x8000, v8, v20
	v_add_nc_u32_e32 v27, 0xfffffc10, v27
	v_cndmask_b32_e64 v22, 0, 1, vcc_lo
	v_lshlrev_b32_e32 v20, v25, v32
	v_cmp_eq_u32_e32 vcc_lo, 0x40f, v26
	v_med3_i32 v25, v33, 0, 13
	v_and_b32_e32 v8, 0xffff, v8
	v_and_or_b32 v22, 0xffe, v29, v22
	v_mul_f16_sdwa v29, v65, v30 dst_sel:DWORD dst_unused:UNUSED_PAD src0_sel:WORD_1 src1_sel:DWORD
	v_cndmask_b32_e32 v26, v24, v18, vcc_lo
	v_cmp_ne_u32_e32 vcc_lo, v20, v28
	v_or_b32_e32 v34, 0x1000, v22
	v_fmac_f16_e32 v29, v65, v3
	v_mul_f16_sdwa v3, v65, v3 dst_sel:DWORD dst_unused:UNUSED_PAD src0_sel:WORD_1 src1_sel:DWORD
	v_cndmask_b32_e64 v18, 0, 1, vcc_lo
	v_add_co_u32 v24, vcc_lo, v14, s5
	v_lshrrev_b32_e32 v28, v25, v34
	v_cvt_f32_f16_e32 v20, v29
	v_lshrrev_b32_e32 v29, 16, v19
	v_or_b32_e32 v32, v32, v18
	v_fma_f16 v3, v65, v30, -v3
	v_lshlrev_b32_e32 v33, v25, v28
	v_add_co_ci_u32_e32 v25, vcc_lo, s4, v15, vcc_lo
	v_cvt_f64_f32_e32 v[18:19], v20
	v_lshl_or_b32 v20, v27, 12, v6
	v_cmp_gt_i32_e32 vcc_lo, 1, v27
	v_and_or_b32 v26, 0x8000, v29, v26
	v_add_nc_u32_e32 v29, 0xfffffc10, v31
	global_store_dword v[24:25], v2, off
	v_lshrrev_b32_e32 v31, 16, v23
	v_cndmask_b32_e32 v20, v20, v32, vcc_lo
	v_cmp_ne_u32_e32 vcc_lo, v33, v34
	v_lshl_or_b32 v15, v29, 12, v22
	v_cmp_gt_i32_e64 s0, 1, v29
	v_lshl_or_b32 v8, v26, 16, v8
	v_and_b32_e32 v14, 7, v20
	v_cndmask_b32_e64 v10, 0, 1, vcc_lo
	v_lshrrev_b32_e32 v26, 16, v13
	v_cmp_lt_i32_e32 vcc_lo, 5, v14
	v_or_b32_e32 v10, v28, v10
	v_cvt_f32_f16_e32 v28, v3
	v_mul_f64 v[2:3], v[18:19], s[2:3]
	v_cndmask_b32_e64 v10, v15, v10, s0
	v_cmp_eq_u32_e64 s0, 3, v14
	v_cvt_f64_f32_e32 v[14:15], v28
	v_lshrrev_b32_e32 v18, 2, v20
	v_and_b32_e32 v19, 7, v10
	s_or_b32 vcc_lo, s0, vcc_lo
	v_lshrrev_b32_e32 v10, 2, v10
	v_add_co_ci_u32_e32 v20, vcc_lo, 0, v18, vcc_lo
	v_cmp_ne_u32_e32 vcc_lo, 0, v6
	v_cmp_eq_u32_e64 s0, 3, v19
	v_add_co_u32 v18, s1, v24, s5
	v_lshrrev_b32_e32 v24, 16, v21
	v_cndmask_b32_e64 v6, 0, 1, vcc_lo
	v_cmp_lt_i32_e32 vcc_lo, 5, v19
	v_add_co_ci_u32_e64 v19, s1, s4, v25, s1
	v_cmp_gt_i32_e64 s1, 31, v27
	v_lshl_or_b32 v6, v6, 9, 0x7c00
	s_or_b32 vcc_lo, s0, vcc_lo
	v_and_or_b32 v2, 0x1ff, v3, v2
	v_add_co_ci_u32_e32 v10, vcc_lo, 0, v10, vcc_lo
	v_cndmask_b32_e64 v20, 0x7c00, v20, s1
	v_cmp_eq_u32_e32 vcc_lo, 0x40f, v27
	v_mul_f64 v[14:15], v[14:15], s[2:3]
	v_lshrrev_b32_e32 v21, 8, v3
	v_bfe_u32 v27, v3, 20, 11
	v_mul_f16_sdwa v25, v64, v26 dst_sel:DWORD dst_unused:UNUSED_PAD src0_sel:WORD_1 src1_sel:DWORD
	v_cndmask_b32_e32 v6, v20, v6, vcc_lo
	v_cmp_ne_u32_e32 vcc_lo, 0, v22
	global_store_dword v[18:19], v8, off
	v_mad_u64_u32 v[18:19], null, 0xffffdd80, s8, v[18:19]
	v_fmac_f16_e32 v25, v64, v13
	v_cndmask_b32_e64 v20, 0, 1, vcc_lo
	v_cmp_ne_u32_e32 vcc_lo, 0, v2
	v_and_or_b32 v6, 0x8000, v24, v6
	v_mul_f16_sdwa v13, v64, v13 dst_sel:DWORD dst_unused:UNUSED_PAD src0_sel:WORD_1 src1_sel:DWORD
	v_lshl_or_b32 v22, v20, 9, 0x7c00
	v_cndmask_b32_e64 v2, 0, 1, vcc_lo
	v_cmp_gt_i32_e32 vcc_lo, 31, v29
	v_fma_f16 v13, v64, v26, -v13
	v_and_b32_e32 v6, 0xffff, v6
	v_and_or_b32 v28, 0xffe, v21, v2
	v_sub_nc_u32_e32 v2, 0x3f1, v27
	v_cndmask_b32_e32 v10, 0x7c00, v10, vcc_lo
	v_cmp_eq_u32_e32 vcc_lo, 0x40f, v29
	v_and_or_b32 v14, 0x1ff, v15, v14
	v_or_b32_e32 v29, 0x1000, v28
	v_med3_i32 v30, v2, 0, 13
	v_mad_u64_u32 v[20:21], null, s8, v63, 0
	v_cndmask_b32_e32 v10, v10, v22, vcc_lo
	v_cmp_ne_u32_e32 vcc_lo, 0, v14
	v_lshrrev_b32_e32 v32, v30, v29
	v_cvt_f32_f16_e32 v22, v25
	v_bfe_u32 v33, v15, 20, 11
	v_add_nc_u32_e32 v27, 0xfffffc10, v27
	v_mov_b32_e32 v2, v21
	v_cndmask_b32_e64 v14, 0, 1, vcc_lo
	v_lshrrev_b32_e32 v21, 8, v15
	v_lshlrev_b32_e32 v30, v30, v32
	v_cvt_f64_f32_e32 v[22:23], v22
	v_mad_u64_u32 v[24:25], null, s9, v63, v[2:3]
	v_and_or_b32 v2, 0xffe, v21, v14
	v_sub_nc_u32_e32 v14, 0x3f1, v33
	v_cmp_ne_u32_e32 vcc_lo, v30, v29
	v_cvt_f32_f16_e32 v30, v13
	v_and_or_b32 v10, 0x8000, v31, v10
	v_or_b32_e32 v29, 0x1000, v2
	v_med3_i32 v26, v14, 0, 13
	v_cndmask_b32_e64 v25, 0, 1, vcc_lo
	v_mov_b32_e32 v21, v24
	v_cmp_gt_i32_e32 vcc_lo, 1, v27
	v_lshl_or_b32 v6, v10, 16, v6
	v_lshrrev_b32_e32 v3, 16, v3
	v_or_b32_e32 v24, v32, v25
	v_lshl_or_b32 v25, v27, 12, v28
	v_lshrrev_b32_e32 v32, v26, v29
	v_lshlrev_b64 v[20:21], 2, v[20:21]
	v_lshrrev_b32_e32 v15, 16, v15
	v_cndmask_b32_e32 v24, v25, v24, vcc_lo
	v_lshlrev_b32_e32 v25, v26, v32
	v_mul_f64 v[13:14], v[22:23], s[2:3]
	v_cvt_f64_f32_e32 v[22:23], v30
	v_and_b32_e32 v26, 7, v24
	v_cmp_ne_u32_e32 vcc_lo, v25, v29
	v_lshrrev_b32_e32 v10, 2, v24
	v_add_nc_u32_e32 v25, 0xfffffc10, v33
	v_cmp_eq_u32_e64 s0, 3, v26
	v_cndmask_b32_e64 v8, 0, 1, vcc_lo
	v_cmp_lt_i32_e32 vcc_lo, 5, v26
	v_lshl_or_b32 v24, v25, 12, v2
	v_or_b32_e32 v8, v32, v8
	s_or_b32 vcc_lo, s0, vcc_lo
	v_add_co_ci_u32_e32 v10, vcc_lo, 0, v10, vcc_lo
	v_cmp_ne_u32_e32 vcc_lo, 0, v28
	v_and_or_b32 v13, 0x1ff, v14, v13
	v_mul_f64 v[22:23], v[22:23], s[2:3]
	v_cndmask_b32_e64 v26, 0, 1, vcc_lo
	v_add_co_u32 v20, vcc_lo, v17, v20
	v_add_co_ci_u32_e32 v21, vcc_lo, v16, v21, vcc_lo
	v_cmp_gt_i32_e32 vcc_lo, 1, v25
	v_bfe_u32 v28, v14, 20, 11
	global_store_dword v[20:21], v6, off
	v_cndmask_b32_e32 v8, v24, v8, vcc_lo
	v_cmp_gt_i32_e32 vcc_lo, 31, v27
	v_lshl_or_b32 v24, v26, 9, 0x7c00
	v_lshrrev_b32_e32 v26, 8, v14
	v_lshrrev_b32_e32 v14, 16, v14
	v_and_b32_e32 v29, 7, v8
	v_cndmask_b32_e32 v10, 0x7c00, v10, vcc_lo
	v_cmp_ne_u32_e32 vcc_lo, 0, v13
	v_lshrrev_b32_e32 v8, 2, v8
	v_cmp_eq_u32_e64 s0, 3, v29
	v_and_or_b32 v20, 0x1ff, v23, v22
	v_cndmask_b32_e64 v13, 0, 1, vcc_lo
	v_cmp_eq_u32_e32 vcc_lo, 0x40f, v27
	v_lshrrev_b32_e32 v27, 8, v23
	v_cndmask_b32_e32 v6, v10, v24, vcc_lo
	v_cmp_lt_i32_e32 vcc_lo, 5, v29
	v_lshrrev_b32_e32 v24, 16, v0
	v_and_or_b32 v10, 0xffe, v26, v13
	v_sub_nc_u32_e32 v13, 0x3f1, v28
	v_bfe_u32 v29, v23, 20, 11
	s_or_b32 vcc_lo, s0, vcc_lo
	v_mul_f16_sdwa v21, v62, v24 dst_sel:DWORD dst_unused:UNUSED_PAD src0_sel:WORD_1 src1_sel:DWORD
	v_add_co_ci_u32_e32 v8, vcc_lo, 0, v8, vcc_lo
	v_or_b32_e32 v26, 0x1000, v10
	v_med3_i32 v13, v13, 0, 13
	v_cmp_ne_u32_e32 vcc_lo, 0, v20
	v_fmac_f16_e32 v21, v62, v0
	v_sub_nc_u32_e32 v30, 0x3f1, v29
	v_mul_f16_sdwa v0, v62, v0 dst_sel:DWORD dst_unused:UNUSED_PAD src0_sel:WORD_1 src1_sel:DWORD
	v_lshrrev_b32_e32 v22, v13, v26
	v_cndmask_b32_e64 v20, 0, 1, vcc_lo
	v_cmp_ne_u32_e32 vcc_lo, 0, v2
	v_cvt_f32_f16_e32 v21, v21
	v_med3_i32 v30, v30, 0, 13
	v_lshlrev_b32_e32 v13, v13, v22
	v_and_or_b32 v27, 0xffe, v27, v20
	v_cndmask_b32_e64 v2, 0, 1, vcc_lo
	v_cmp_gt_i32_e32 vcc_lo, 31, v25
	v_cvt_f64_f32_e32 v[20:21], v21
	v_fma_f16 v0, v62, v24, -v0
	v_or_b32_e32 v31, 0x1000, v27
	v_lshl_or_b32 v2, v2, 9, 0x7c00
	v_cndmask_b32_e32 v8, 0x7c00, v8, vcc_lo
	v_cmp_ne_u32_e32 vcc_lo, v13, v26
	v_add_nc_u32_e32 v26, 0xfffffc10, v28
	v_lshrrev_b32_e32 v28, v30, v31
	v_and_or_b32 v3, 0x8000, v3, v6
	v_cvt_f32_f16_e32 v0, v0
	v_cndmask_b32_e64 v13, 0, 1, vcc_lo
	v_cmp_eq_u32_e32 vcc_lo, 0x40f, v25
	v_cndmask_b32_e32 v2, v8, v2, vcc_lo
	v_or_b32_e32 v8, v22, v13
	v_lshl_or_b32 v13, v26, 12, v10
	v_cmp_gt_i32_e32 vcc_lo, 1, v26
	v_lshlrev_b32_e32 v22, v30, v28
	v_and_or_b32 v6, 0x8000, v15, v2
	v_mul_f64 v[20:21], v[20:21], s[2:3]
	v_cndmask_b32_e32 v8, v13, v8, vcc_lo
	v_cmp_ne_u32_e32 vcc_lo, v22, v31
	v_add_nc_u32_e32 v22, 0xfffffc10, v29
	v_and_b32_e32 v29, 0xffff, v3
	v_cvt_f64_f32_e32 v[2:3], v0
	v_and_b32_e32 v13, 7, v8
	v_cndmask_b32_e64 v15, 0, 1, vcc_lo
	v_lshrrev_b32_e32 v8, 2, v8
	v_cmp_gt_i32_e64 s1, 1, v22
	v_lshl_or_b32 v6, v6, 16, v29
	v_cmp_lt_i32_e32 vcc_lo, 5, v13
	v_cmp_eq_u32_e64 s0, 3, v13
	v_or_b32_e32 v0, v28, v15
	v_lshl_or_b32 v15, v22, 12, v27
	s_or_b32 vcc_lo, s0, vcc_lo
	v_add_co_ci_u32_e32 v8, vcc_lo, 0, v8, vcc_lo
	v_cndmask_b32_e64 v0, v15, v0, s1
	v_cmp_ne_u32_e32 vcc_lo, 0, v10
	v_and_or_b32 v13, 0x1ff, v21, v20
	v_and_b32_e32 v15, 7, v0
	v_cndmask_b32_e64 v10, 0, 1, vcc_lo
	v_cmp_gt_i32_e32 vcc_lo, 31, v26
	v_mul_f64 v[24:25], v[2:3], s[2:3]
	v_lshrrev_b32_e32 v0, 2, v0
	v_cmp_eq_u32_e64 s0, 3, v15
	v_cmp_ne_u32_e64 s1, 0, v13
	v_cndmask_b32_e32 v8, 0x7c00, v8, vcc_lo
	v_cmp_lt_i32_e32 vcc_lo, 5, v15
	v_lshrrev_b32_e32 v3, 8, v21
	v_bfe_u32 v13, v21, 20, 11
	v_cndmask_b32_e64 v2, 0, 1, s1
	v_lshl_or_b32 v10, v10, 9, 0x7c00
	s_or_b32 vcc_lo, s0, vcc_lo
	s_sub_i32 s0, s10, s8
	v_add_co_ci_u32_e32 v0, vcc_lo, 0, v0, vcc_lo
	v_cmp_ne_u32_e32 vcc_lo, 0, v27
	v_and_or_b32 v20, 0xffe, v3, v2
	v_sub_nc_u32_e32 v2, 0x3f1, v13
	v_lshrrev_b32_e32 v27, 16, v12
	v_add_nc_u32_e32 v28, 0xfffffc10, v13
	v_cndmask_b32_e64 v3, 0, 1, vcc_lo
	v_cmp_gt_i32_e32 vcc_lo, 31, v22
	v_or_b32_e32 v15, 0x1000, v20
	v_med3_i32 v2, v2, 0, 13
	v_and_or_b32 v24, 0x1ff, v25, v24
	v_lshl_or_b32 v3, v3, 9, 0x7c00
	v_cndmask_b32_e32 v0, 0x7c00, v0, vcc_lo
	v_cmp_eq_u32_e32 vcc_lo, 0x40f, v26
	v_mul_f16_sdwa v26, v61, v27 dst_sel:DWORD dst_unused:UNUSED_PAD src0_sel:WORD_1 src1_sel:DWORD
	v_add_nc_u32_e32 v19, s0, v19
	v_cndmask_b32_e32 v8, v8, v10, vcc_lo
	v_lshrrev_b32_e32 v10, v2, v15
	v_cmp_eq_u32_e32 vcc_lo, 0x40f, v22
	v_fmac_f16_e32 v26, v61, v12
	v_lshrrev_b32_e32 v22, 16, v23
	v_and_or_b32 v8, 0x8000, v14, v8
	v_lshlrev_b32_e32 v2, v2, v10
	v_cndmask_b32_e32 v0, v0, v3, vcc_lo
	v_cmp_ne_u32_e32 vcc_lo, 0, v24
	v_cvt_f32_f16_e32 v3, v26
	v_lshrrev_b32_e32 v24, 8, v25
	v_bfe_u32 v26, v25, 20, 11
	v_lshl_or_b32 v14, v28, 12, v20
	v_cndmask_b32_e64 v23, 0, 1, vcc_lo
	v_cmp_ne_u32_e32 vcc_lo, v2, v15
	v_cvt_f64_f32_e32 v[2:3], v3
	v_sub_nc_u32_e32 v13, 0x3f1, v26
	v_and_or_b32 v0, 0x8000, v22, v0
	v_and_or_b32 v23, 0xffe, v24, v23
	v_cndmask_b32_e64 v15, 0, 1, vcc_lo
	v_cmp_gt_i32_e32 vcc_lo, 1, v28
	v_med3_i32 v13, v13, 0, 13
	v_and_b32_e32 v8, 0xffff, v8
	v_mul_f16_sdwa v12, v61, v12 dst_sel:DWORD dst_unused:UNUSED_PAD src0_sel:WORD_1 src1_sel:DWORD
	v_or_b32_e32 v10, v10, v15
	v_or_b32_e32 v15, 0x1000, v23
	v_lshl_or_b32 v0, v0, 16, v8
	v_fma_f16 v8, v61, v27, -v12
	v_cndmask_b32_e32 v10, v14, v10, vcc_lo
	v_lshrrev_b32_e32 v22, v13, v15
	v_and_b32_e32 v14, 7, v10
	v_lshlrev_b32_e32 v24, v13, v22
	v_mul_f64 v[12:13], v[2:3], s[2:3]
	v_cvt_f32_f16_e32 v2, v8
	v_cmp_lt_i32_e32 vcc_lo, 5, v14
	v_cmp_eq_u32_e64 s0, 3, v14
	v_lshrrev_b32_e32 v3, 2, v10
	v_cmp_ne_u32_e64 s1, v24, v15
	v_cvt_f64_f32_e32 v[14:15], v2
	v_add_nc_u32_e32 v10, 0xfffffc10, v26
	s_or_b32 vcc_lo, s0, vcc_lo
	v_add_co_ci_u32_e32 v24, vcc_lo, 0, v3, vcc_lo
	v_cmp_ne_u32_e32 vcc_lo, 0, v20
	v_cndmask_b32_e64 v8, 0, 1, s1
	v_cndmask_b32_e64 v20, 0, 1, vcc_lo
	v_add_co_u32 v2, vcc_lo, v18, s5
	v_add_co_ci_u32_e32 v3, vcc_lo, s4, v19, vcc_lo
	v_or_b32_e32 v8, v22, v8
	v_lshl_or_b32 v22, v10, 12, v23
	v_cmp_gt_i32_e32 vcc_lo, 1, v10
	v_and_or_b32 v12, 0x1ff, v13, v12
	v_lshl_or_b32 v20, v20, 9, 0x7c00
	global_store_dword v[18:19], v6, off
	global_store_dword v[2:3], v0, off
	v_mul_f64 v[14:15], v[14:15], s[2:3]
	v_cndmask_b32_e32 v8, v22, v8, vcc_lo
	v_cmp_gt_i32_e32 vcc_lo, 31, v28
	v_cmp_ne_u32_e64 s0, 0, v12
	v_lshrrev_b32_e32 v12, 8, v13
	v_mad_u64_u32 v[18:19], null, s8, v58, 0
	v_cndmask_b32_e32 v22, 0x7c00, v24, vcc_lo
	v_and_b32_e32 v24, 7, v8
	v_cmp_eq_u32_e32 vcc_lo, 0x40f, v28
	v_cndmask_b32_e64 v6, 0, 1, s0
	v_lshrrev_b32_e32 v8, 2, v8
	v_lshrrev_b32_e32 v31, 16, v13
	v_cmp_eq_u32_e64 s0, 3, v24
	v_cndmask_b32_e32 v0, v22, v20, vcc_lo
	v_cmp_lt_i32_e32 vcc_lo, 5, v24
	v_bfe_u32 v22, v13, 20, 11
	v_and_or_b32 v6, 0xffe, v12, v6
	v_lshrrev_b32_e32 v24, 16, v1
	v_lshrrev_b32_e32 v20, 16, v21
	s_or_b32 vcc_lo, s0, vcc_lo
	v_sub_nc_u32_e32 v12, 0x3f1, v22
	v_add_co_ci_u32_e32 v8, vcc_lo, 0, v8, vcc_lo
	v_cmp_ne_u32_e32 vcc_lo, 0, v23
	v_or_b32_e32 v23, 0x1000, v6
	v_med3_i32 v12, v12, 0, 13
	v_mul_f16_sdwa v26, v60, v24 dst_sel:DWORD dst_unused:UNUSED_PAD src0_sel:WORD_1 src1_sel:DWORD
	v_and_or_b32 v14, 0x1ff, v15, v14
	v_cndmask_b32_e64 v21, 0, 1, vcc_lo
	v_cmp_gt_i32_e32 vcc_lo, 31, v10
	v_lshrrev_b32_e32 v27, v12, v23
	v_fmac_f16_e32 v26, v60, v1
	v_and_or_b32 v28, 0x8000, v20, v0
	v_lshl_or_b32 v21, v21, 9, 0x7c00
	v_cndmask_b32_e32 v8, 0x7c00, v8, vcc_lo
	v_cmp_eq_u32_e32 vcc_lo, 0x40f, v10
	v_lshlrev_b32_e32 v12, v12, v27
	v_cvt_f32_f16_e32 v10, v26
	v_mov_b32_e32 v0, v19
	v_bfe_u32 v26, v15, 20, 11
	v_cndmask_b32_e32 v8, v8, v21, vcc_lo
	v_cmp_ne_u32_e32 vcc_lo, 0, v14
	v_cvt_f64_f32_e32 v[19:20], v10
	v_lshrrev_b32_e32 v21, 8, v15
	v_cndmask_b32_e64 v14, 0, 1, vcc_lo
	v_cmp_ne_u32_e32 vcc_lo, v12, v23
	v_add_nc_u32_e32 v12, 0xfffffc10, v22
	v_lshrrev_b32_e32 v22, 16, v25
	v_mul_f16_sdwa v25, v60, v1 dst_sel:DWORD dst_unused:UNUSED_PAD src0_sel:WORD_1 src1_sel:DWORD
	v_and_or_b32 v14, 0xffe, v21, v14
	v_cndmask_b32_e64 v10, 0, 1, vcc_lo
	v_sub_nc_u32_e32 v21, 0x3f1, v26
	v_lshl_or_b32 v23, v12, 12, v6
	v_cmp_gt_i32_e32 vcc_lo, 1, v12
	v_mad_u64_u32 v[0:1], null, s9, v58, v[0:1]
	v_or_b32_e32 v10, v27, v10
	v_or_b32_e32 v27, 0x1000, v14
	v_med3_i32 v21, v21, 0, 13
	v_fma_f16 v1, v60, v24, -v25
	v_and_b32_e32 v25, 0xffff, v28
	v_cndmask_b32_e32 v10, v23, v10, vcc_lo
	v_and_or_b32 v8, 0x8000, v22, v8
	v_lshrrev_b32_e32 v24, v21, v27
	v_cvt_f32_f16_e32 v1, v1
	v_and_b32_e32 v28, 7, v10
	v_lshl_or_b32 v8, v8, 16, v25
	v_lshlrev_b32_e32 v29, v21, v24
	v_mul_f64 v[20:21], v[19:20], s[2:3]
	v_mov_b32_e32 v19, v0
	v_cmp_lt_i32_e32 vcc_lo, 5, v28
	v_cmp_eq_u32_e64 s0, 3, v28
	v_lshrrev_b32_e32 v0, 2, v10
	v_cvt_f64_f32_e32 v[22:23], v1
	v_cmp_ne_u32_e64 s1, v29, v27
	v_add_nc_u32_e32 v10, 0xfffffc10, v26
	s_or_b32 vcc_lo, s0, vcc_lo
	v_add_co_ci_u32_e32 v25, vcc_lo, 0, v0, vcc_lo
	v_cmp_ne_u32_e32 vcc_lo, 0, v6
	v_cndmask_b32_e64 v1, 0, 1, s1
	v_lshl_or_b32 v26, v10, 12, v14
	v_cndmask_b32_e64 v6, 0, 1, vcc_lo
	v_cmp_gt_i32_e32 vcc_lo, 31, v12
	v_or_b32_e32 v24, v24, v1
	v_lshlrev_b64 v[0:1], 2, v[18:19]
	v_and_or_b32 v20, 0x1ff, v21, v20
	v_cndmask_b32_e32 v25, 0x7c00, v25, vcc_lo
	v_cmp_gt_i32_e32 vcc_lo, 1, v10
	v_bfe_u32 v28, v21, 20, 11
	v_lshl_or_b32 v6, v6, 9, 0x7c00
	v_mul_f64 v[18:19], v[22:23], s[2:3]
	v_lshrrev_b32_e32 v23, 8, v21
	v_cndmask_b32_e32 v24, v26, v24, vcc_lo
	v_cmp_ne_u32_e32 vcc_lo, 0, v20
	v_lshrrev_b32_e32 v26, 16, v9
	v_lshrrev_b32_e32 v21, 16, v21
	v_and_b32_e32 v22, 7, v24
	v_cndmask_b32_e64 v20, 0, 1, vcc_lo
	v_add_co_u32 v0, vcc_lo, v17, v0
	v_add_co_ci_u32_e32 v1, vcc_lo, v16, v1, vcc_lo
	v_cmp_lt_i32_e32 vcc_lo, 5, v22
	v_cmp_eq_u32_e64 s0, 3, v22
	v_lshrrev_b32_e32 v24, 2, v24
	v_mul_f16_sdwa v27, v59, v26 dst_sel:DWORD dst_unused:UNUSED_PAD src0_sel:WORD_1 src1_sel:DWORD
	v_and_or_b32 v20, 0xffe, v23, v20
	v_sub_nc_u32_e32 v23, 0x3f1, v28
	s_or_b32 vcc_lo, s0, vcc_lo
	global_store_dword v[0:1], v8, off
	v_add_co_ci_u32_e32 v24, vcc_lo, 0, v24, vcc_lo
	v_cmp_ne_u32_e32 vcc_lo, 0, v14
	v_fmac_f16_e32 v27, v59, v9
	v_and_or_b32 v18, 0x1ff, v19, v18
	v_med3_i32 v29, v23, 0, 13
	v_bfe_u32 v30, v19, 20, 11
	v_cndmask_b32_e64 v14, 0, 1, vcc_lo
	v_cmp_eq_u32_e32 vcc_lo, 0x40f, v12
	v_cvt_f32_f16_e32 v22, v27
	v_or_b32_e32 v27, 0x1000, v20
	v_sub_nc_u32_e32 v13, 0x3f1, v30
	v_lshl_or_b32 v14, v14, 9, 0x7c00
	v_cndmask_b32_e32 v6, v25, v6, vcc_lo
	v_cmp_gt_i32_e32 vcc_lo, 31, v10
	v_cvt_f64_f32_e32 v[22:23], v22
	v_lshrrev_b32_e32 v25, v29, v27
	v_mul_f16_sdwa v9, v59, v9 dst_sel:DWORD dst_unused:UNUSED_PAD src0_sel:WORD_1 src1_sel:DWORD
	v_and_or_b32 v6, 0x8000, v31, v6
	v_cndmask_b32_e32 v12, 0x7c00, v24, vcc_lo
	v_cmp_ne_u32_e32 vcc_lo, 0, v18
	v_lshrrev_b32_e32 v24, 8, v19
	v_lshlrev_b32_e32 v29, v29, v25
	v_fma_f16 v9, v59, v26, -v9
	v_and_b32_e32 v6, 0xffff, v6
	v_cndmask_b32_e64 v18, 0, 1, vcc_lo
	v_cmp_eq_u32_e32 vcc_lo, 0x40f, v10
	v_cvt_f32_f16_e32 v9, v9
	v_and_or_b32 v18, 0xffe, v24, v18
	v_cndmask_b32_e32 v10, v12, v14, vcc_lo
	v_lshrrev_b32_e32 v14, 16, v15
	v_med3_i32 v24, v13, 0, 13
	v_cmp_ne_u32_e32 vcc_lo, v29, v27
	v_or_b32_e32 v15, 0x1000, v18
	v_cvt_f64_f32_e32 v[0:1], v9
	v_mul_f64 v[12:13], v[22:23], s[2:3]
	v_add_nc_u32_e32 v23, 0xfffffc10, v28
	v_cndmask_b32_e64 v22, 0, 1, vcc_lo
	v_lshrrev_b32_e32 v27, v24, v15
	v_and_or_b32 v10, 0x8000, v14, v10
	v_cmp_gt_i32_e32 vcc_lo, 1, v23
	v_or_b32_e32 v22, v25, v22
	v_lshl_or_b32 v25, v23, 12, v20
	v_lshlrev_b32_e32 v24, v24, v27
	v_lshl_or_b32 v6, v10, 16, v6
	v_cndmask_b32_e32 v14, v25, v22, vcc_lo
	v_cmp_ne_u32_e32 vcc_lo, v24, v15
	v_add_nc_u32_e32 v15, 0xfffffc10, v30
	v_and_b32_e32 v9, 7, v14
	v_cndmask_b32_e64 v8, 0, 1, vcc_lo
	v_cmp_gt_i32_e64 s1, 1, v15
	v_mul_f64 v[0:1], v[0:1], s[2:3]
	v_and_or_b32 v10, 0x1ff, v13, v12
	v_lshl_or_b32 v12, v15, 12, v18
	v_or_b32_e32 v8, v27, v8
	v_cmp_lt_i32_e32 vcc_lo, 5, v9
	v_cmp_eq_u32_e64 s0, 3, v9
	v_lshrrev_b32_e32 v9, 2, v14
	v_bfe_u32 v14, v13, 20, 11
	v_cndmask_b32_e64 v8, v12, v8, s1
	v_cmp_ne_u32_e64 s1, 0, v10
	s_or_b32 vcc_lo, s0, vcc_lo
	v_lshrrev_b32_e32 v12, 8, v13
	v_add_co_ci_u32_e32 v9, vcc_lo, 0, v9, vcc_lo
	v_and_b32_e32 v22, 7, v8
	v_cmp_ne_u32_e32 vcc_lo, 0, v20
	v_cndmask_b32_e64 v10, 0, 1, s1
	v_lshrrev_b32_e32 v8, 2, v8
	v_cmp_gt_i32_e64 s1, 31, v23
	v_cmp_eq_u32_e64 s0, 3, v22
	v_cndmask_b32_e64 v20, 0, 1, vcc_lo
	v_cmp_lt_i32_e32 vcc_lo, 5, v22
	v_and_or_b32 v10, 0xffe, v12, v10
	v_sub_nc_u32_e32 v12, 0x3f1, v14
	v_cndmask_b32_e64 v9, 0x7c00, v9, s1
	v_lshl_or_b32 v20, v20, 9, 0x7c00
	s_or_b32 vcc_lo, s0, vcc_lo
	v_or_b32_e32 v24, 0x1000, v10
	v_add_co_ci_u32_e32 v8, vcc_lo, 0, v8, vcc_lo
	v_med3_i32 v12, v12, 0, 13
	v_cmp_eq_u32_e32 vcc_lo, 0x40f, v23
	v_lshrrev_b32_e32 v22, 16, v4
	v_and_or_b32 v0, 0x1ff, v1, v0
	v_lshrrev_b32_e32 v25, v12, v24
	v_cndmask_b32_e32 v20, v9, v20, vcc_lo
	v_cmp_gt_i32_e32 vcc_lo, 31, v15
	v_mul_f16_sdwa v26, v57, v22 dst_sel:DWORD dst_unused:UNUSED_PAD src0_sel:WORD_1 src1_sel:DWORD
	v_lshlrev_b32_e32 v9, v12, v25
	v_and_or_b32 v20, 0x8000, v21, v20
	v_cndmask_b32_e32 v12, 0x7c00, v8, vcc_lo
	v_cmp_ne_u32_e32 vcc_lo, 0, v18
	v_fmac_f16_e32 v26, v57, v4
	v_mul_f16_sdwa v4, v57, v4 dst_sel:DWORD dst_unused:UNUSED_PAD src0_sel:WORD_1 src1_sel:DWORD
	v_and_b32_e32 v20, 0xffff, v20
	v_cndmask_b32_e64 v18, 0, 1, vcc_lo
	v_cmp_ne_u32_e32 vcc_lo, v9, v24
	v_add_nc_u32_e32 v24, 0xfffffc10, v14
	v_cvt_f32_f16_e32 v8, v26
	v_lshrrev_b32_e32 v14, 8, v1
	v_bfe_u32 v26, v1, 20, 11
	v_cndmask_b32_e64 v23, 0, 1, vcc_lo
	v_cmp_ne_u32_e32 vcc_lo, 0, v0
	v_cvt_f64_f32_e32 v[8:9], v8
	v_lshl_or_b32 v18, v18, 9, 0x7c00
	v_fma_f16 v4, v57, v22, -v4
	v_or_b32_e32 v23, v25, v23
	v_cndmask_b32_e64 v0, 0, 1, vcc_lo
	v_lshl_or_b32 v25, v24, 12, v10
	v_cmp_gt_i32_e32 vcc_lo, 1, v24
	v_cvt_f32_f16_e32 v4, v4
	v_and_or_b32 v0, 0xffe, v14, v0
	v_sub_nc_u32_e32 v14, 0x3f1, v26
	v_cndmask_b32_e32 v23, v25, v23, vcc_lo
	v_cmp_eq_u32_e32 vcc_lo, 0x40f, v15
	v_or_b32_e32 v25, 0x1000, v0
	v_med3_i32 v14, v14, 0, 13
	v_and_b32_e32 v15, 7, v23
	v_cndmask_b32_e32 v12, v12, v18, vcc_lo
	v_lshrrev_b32_e32 v18, 16, v19
	v_lshrrev_b32_e32 v22, 2, v23
	;; [unrolled: 1-line block ×3, first 2 shown]
	v_cmp_lt_i32_e32 vcc_lo, 5, v15
	v_cmp_eq_u32_e64 s0, 3, v15
	v_mul_f64 v[8:9], v[8:9], s[2:3]
	v_and_or_b32 v18, 0x8000, v18, v12
	v_lshlrev_b32_e32 v21, v14, v19
	v_cvt_f64_f32_e32 v[14:15], v4
	s_or_b32 vcc_lo, s0, vcc_lo
	v_add_co_ci_u32_e32 v4, vcc_lo, 0, v22, vcc_lo
	v_cmp_ne_u32_e32 vcc_lo, v21, v25
	v_add_nc_u32_e32 v21, 0xfffffc10, v26
	v_lshl_or_b32 v18, v18, 16, v20
	v_cndmask_b32_e64 v12, 0, 1, vcc_lo
	v_cmp_ne_u32_e32 vcc_lo, 0, v10
	v_or_b32_e32 v12, v19, v12
	v_cndmask_b32_e64 v10, 0, 1, vcc_lo
	v_cmp_gt_i32_e32 vcc_lo, 31, v24
	v_lshl_or_b32 v19, v21, 12, v0
	v_and_or_b32 v8, 0x1ff, v9, v8
	v_bfe_u32 v20, v9, 20, 11
	v_lshl_or_b32 v10, v10, 9, 0x7c00
	v_cndmask_b32_e32 v4, 0x7c00, v4, vcc_lo
	v_add_co_u32 v2, vcc_lo, v2, s7
	v_add_co_ci_u32_e32 v3, vcc_lo, s6, v3, vcc_lo
	v_cmp_gt_i32_e32 vcc_lo, 1, v21
	v_cndmask_b32_e32 v19, v19, v12, vcc_lo
	v_cmp_eq_u32_e32 vcc_lo, 0x40f, v24
	v_cndmask_b32_e32 v4, v4, v10, vcc_lo
	v_lshrrev_b32_e32 v10, 16, v13
	v_mul_f64 v[12:13], v[14:15], s[2:3]
	v_cmp_ne_u32_e32 vcc_lo, 0, v8
	v_and_b32_e32 v14, 7, v19
	v_lshrrev_b32_e32 v15, 8, v9
	v_and_or_b32 v4, 0x8000, v10, v4
	v_lshrrev_b32_e32 v10, 16, v11
	v_cndmask_b32_e64 v8, 0, 1, vcc_lo
	v_cmp_lt_i32_e32 vcc_lo, 5, v14
	v_cmp_eq_u32_e64 s0, 3, v14
	v_lshrrev_b32_e32 v14, 2, v19
	v_mul_f16_sdwa v22, v56, v10 dst_sel:DWORD dst_unused:UNUSED_PAD src0_sel:WORD_1 src1_sel:DWORD
	v_and_or_b32 v8, 0xffe, v15, v8
	v_sub_nc_u32_e32 v15, 0x3f1, v20
	s_or_b32 vcc_lo, s0, vcc_lo
	v_add_nc_u32_e32 v20, 0xfffffc10, v20
	v_add_co_ci_u32_e32 v14, vcc_lo, 0, v14, vcc_lo
	v_or_b32_e32 v19, 0x1000, v8
	v_med3_i32 v15, v15, 0, 13
	v_cmp_ne_u32_e32 vcc_lo, 0, v0
	v_fmac_f16_e32 v22, v56, v11
	v_and_b32_e32 v4, 0xffff, v4
	v_and_or_b32 v12, 0x1ff, v13, v12
	v_lshrrev_b32_e32 v23, v15, v19
	v_cndmask_b32_e64 v0, 0, 1, vcc_lo
	v_cmp_gt_i32_e32 vcc_lo, 31, v21
	v_cvt_f32_f16_e32 v22, v22
	v_bfe_u32 v26, v13, 20, 11
	v_lshlrev_b32_e32 v24, v15, v23
	v_lshl_or_b32 v0, v0, 9, 0x7c00
	v_cndmask_b32_e32 v25, 0x7c00, v14, vcc_lo
	v_cmp_ne_u32_e32 vcc_lo, 0, v12
	v_cvt_f64_f32_e32 v[14:15], v22
	v_lshrrev_b32_e32 v22, 8, v13
	v_lshrrev_b32_e32 v13, 16, v13
	v_cndmask_b32_e64 v12, 0, 1, vcc_lo
	v_cmp_ne_u32_e32 vcc_lo, v24, v19
	v_and_or_b32 v12, 0xffe, v22, v12
	v_cndmask_b32_e64 v19, 0, 1, vcc_lo
	v_cmp_eq_u32_e32 vcc_lo, 0x40f, v21
	v_sub_nc_u32_e32 v22, 0x3f1, v26
	v_or_b32_e32 v24, 0x1000, v12
	v_or_b32_e32 v19, v23, v19
	v_cndmask_b32_e32 v21, v25, v0, vcc_lo
	v_add_co_u32 v0, vcc_lo, v2, s5
	v_lshrrev_b32_e32 v25, 16, v1
	v_add_co_ci_u32_e32 v1, vcc_lo, s4, v3, vcc_lo
	v_lshl_or_b32 v23, v20, 12, v8
	v_cmp_gt_i32_e32 vcc_lo, 1, v20
	v_med3_i32 v22, v22, 0, 13
	v_and_or_b32 v21, 0x8000, v25, v21
	v_mul_f64 v[14:15], v[14:15], s[2:3]
	global_store_dword v[2:3], v6, off
	global_store_dword v[0:1], v18, off
	v_cndmask_b32_e32 v19, v23, v19, vcc_lo
	v_lshrrev_b32_e32 v23, v22, v24
	v_mul_f16_sdwa v3, v56, v11 dst_sel:DWORD dst_unused:UNUSED_PAD src0_sel:WORD_1 src1_sel:DWORD
	v_lshl_or_b32 v2, v21, 16, v4
	v_add_nc_u32_e32 v18, 0xfffffc10, v26
	v_and_b32_e32 v25, 7, v19
	v_lshlrev_b32_e32 v22, v22, v23
	v_lshrrev_b32_e32 v4, 2, v19
	v_fma_f16 v3, v56, v10, -v3
	v_lshl_or_b32 v11, v18, 12, v12
	v_cmp_lt_i32_e32 vcc_lo, 5, v25
	v_cmp_eq_u32_e64 s0, 3, v25
	v_cmp_ne_u32_e64 s1, v22, v24
	v_cvt_f32_f16_e32 v3, v3
	v_lshrrev_b32_e32 v22, 16, v5
	s_or_b32 vcc_lo, s0, vcc_lo
	v_cndmask_b32_e64 v6, 0, 1, s1
	v_add_co_ci_u32_e32 v10, vcc_lo, 0, v4, vcc_lo
	v_cmp_ne_u32_e32 vcc_lo, 0, v8
	v_cvt_f64_f32_e32 v[3:4], v3
	v_or_b32_e32 v6, v23, v6
	v_lshrrev_b32_e32 v19, 8, v15
	v_bfe_u32 v21, v15, 20, 11
	v_cndmask_b32_e64 v8, 0, 1, vcc_lo
	v_cmp_gt_i32_e32 vcc_lo, 1, v18
	v_mul_f16_sdwa v23, v55, v22 dst_sel:DWORD dst_unused:UNUSED_PAD src0_sel:WORD_1 src1_sel:DWORD
	v_cmp_eq_u32_e64 s1, 0x40f, v20
	v_lshl_or_b32 v8, v8, 9, 0x7c00
	v_cndmask_b32_e32 v6, v11, v6, vcc_lo
	v_and_or_b32 v11, 0x1ff, v15, v14
	v_cmp_gt_i32_e32 vcc_lo, 31, v20
	v_fmac_f16_e32 v23, v55, v5
	v_mul_f16_sdwa v5, v55, v5 dst_sel:DWORD dst_unused:UNUSED_PAD src0_sel:WORD_1 src1_sel:DWORD
	v_and_b32_e32 v14, 7, v6
	v_lshrrev_b32_e32 v6, 2, v6
	v_cndmask_b32_e32 v10, 0x7c00, v10, vcc_lo
	v_cmp_ne_u32_e32 vcc_lo, 0, v11
	v_fma_f16 v22, v55, v22, -v5
	v_cmp_eq_u32_e64 s0, 3, v14
	v_lshrrev_b32_e32 v15, 16, v15
	v_mul_f64 v[3:4], v[3:4], s[2:3]
	v_cndmask_b32_e64 v11, 0, 1, vcc_lo
	v_add_co_u32 v0, vcc_lo, v0, s5
	v_add_co_ci_u32_e32 v1, vcc_lo, s4, v1, vcc_lo
	v_and_or_b32 v19, 0xffe, v19, v11
	v_sub_nc_u32_e32 v11, 0x3f1, v21
	v_cmp_lt_i32_e32 vcc_lo, 5, v14
	v_cndmask_b32_e64 v20, v10, v8, s1
	v_cvt_f32_f16_e32 v10, v23
	v_or_b32_e32 v14, 0x1000, v19
	v_med3_i32 v11, v11, 0, 13
	s_or_b32 vcc_lo, s0, vcc_lo
	v_lshrrev_b32_e32 v23, 16, v9
	v_add_co_ci_u32_e32 v6, vcc_lo, 0, v6, vcc_lo
	v_lshrrev_b32_e32 v24, v11, v14
	v_cmp_ne_u32_e32 vcc_lo, 0, v12
	v_lshlrev_b32_e32 v12, v11, v24
	v_cndmask_b32_e64 v8, 0, 1, vcc_lo
	v_cmp_gt_i32_e32 vcc_lo, 31, v18
	v_and_or_b32 v3, 0x1ff, v4, v3
	v_lshl_or_b32 v25, v8, 9, 0x7c00
	v_cndmask_b32_e32 v6, 0x7c00, v6, vcc_lo
	v_cmp_ne_u32_e32 vcc_lo, v12, v14
	v_cvt_f64_f32_e32 v[8:9], v10
	v_add_nc_u32_e32 v14, 0xfffffc10, v21
	v_mad_u64_u32 v[10:11], null, s8, v53, 0
	v_cndmask_b32_e64 v12, 0, 1, vcc_lo
	v_cmp_eq_u32_e32 vcc_lo, 0x40f, v18
	v_and_or_b32 v18, 0x8000, v23, v20
	v_lshl_or_b32 v20, v14, 12, v19
	v_lshrrev_b32_e32 v23, 8, v4
	v_or_b32_e32 v12, v24, v12
	v_cndmask_b32_e32 v6, v6, v25, vcc_lo
	v_cmp_ne_u32_e32 vcc_lo, 0, v3
	v_bfe_u32 v24, v4, 20, 11
	v_mov_b32_e32 v3, v11
	v_and_or_b32 v6, 0x8000, v13, v6
	v_cndmask_b32_e64 v21, 0, 1, vcc_lo
	v_cmp_gt_i32_e32 vcc_lo, 1, v14
	v_and_b32_e32 v13, 0xffff, v18
	v_and_or_b32 v21, 0xffe, v23, v21
	v_cndmask_b32_e32 v20, v20, v12, vcc_lo
	v_sub_nc_u32_e32 v23, 0x3f1, v24
	v_mad_u64_u32 v[11:12], null, s9, v53, v[3:4]
	v_mul_f64 v[8:9], v[8:9], s[2:3]
	v_and_b32_e32 v3, 7, v20
	v_or_b32_e32 v12, 0x1000, v21
	v_med3_i32 v23, v23, 0, 13
	v_lshrrev_b32_e32 v18, 2, v20
	v_lshl_or_b32 v20, v6, 16, v13
	v_cmp_lt_i32_e32 vcc_lo, 5, v3
	v_cmp_eq_u32_e64 s0, 3, v3
	v_lshrrev_b32_e32 v3, v23, v12
	v_lshlrev_b64 v[5:6], 2, v[10:11]
	v_cvt_f32_f16_e32 v10, v22
	v_add_nc_u32_e32 v22, 0xfffffc10, v24
	s_or_b32 vcc_lo, s0, vcc_lo
	v_lshlrev_b32_e32 v13, v23, v3
	v_add_co_ci_u32_e32 v18, vcc_lo, 0, v18, vcc_lo
	v_cmp_ne_u32_e32 vcc_lo, 0, v19
	v_cvt_f64_f32_e32 v[10:11], v10
	v_cndmask_b32_e64 v19, 0, 1, vcc_lo
	v_cmp_ne_u32_e32 vcc_lo, v13, v12
	v_and_or_b32 v8, 0x1ff, v9, v8
	v_lshrrev_b32_e32 v23, 8, v9
	v_bfe_u32 v24, v9, 20, 11
	v_lshrrev_b32_e32 v9, 16, v9
	v_cndmask_b32_e64 v12, 0, 1, vcc_lo
	v_cmp_gt_i32_e32 vcc_lo, 31, v14
	v_or_b32_e32 v3, v3, v12
	v_cndmask_b32_e32 v13, 0x7c00, v18, vcc_lo
	v_cmp_ne_u32_e32 vcc_lo, 0, v8
	v_lshl_or_b32 v12, v22, 12, v21
	v_lshrrev_b32_e32 v18, 16, v7
	v_cndmask_b32_e64 v8, 0, 1, vcc_lo
	v_cmp_gt_i32_e32 vcc_lo, 1, v22
	v_mul_f16_sdwa v25, v54, v18 dst_sel:DWORD dst_unused:UNUSED_PAD src0_sel:WORD_1 src1_sel:DWORD
	v_mul_f64 v[10:11], v[10:11], s[2:3]
	v_and_or_b32 v23, 0xffe, v23, v8
	v_sub_nc_u32_e32 v8, 0x3f1, v24
	v_cndmask_b32_e32 v3, v12, v3, vcc_lo
	v_lshl_or_b32 v12, v19, 9, 0x7c00
	v_cmp_eq_u32_e32 vcc_lo, 0x40f, v14
	v_or_b32_e32 v19, 0x1000, v23
	v_med3_i32 v8, v8, 0, 13
	v_and_b32_e32 v26, 7, v3
	v_fmac_f16_e32 v25, v54, v7
	v_cndmask_b32_e32 v14, v13, v12, vcc_lo
	v_lshrrev_b32_e32 v3, 2, v3
	v_lshrrev_b32_e32 v27, v8, v19
	v_cmp_lt_i32_e32 vcc_lo, 5, v26
	v_cmp_eq_u32_e64 s0, 3, v26
	v_cvt_f32_f16_e32 v25, v25
	v_mul_f16_sdwa v7, v54, v7 dst_sel:DWORD dst_unused:UNUSED_PAD src0_sel:WORD_1 src1_sel:DWORD
	v_lshlrev_b32_e32 v8, v8, v27
	v_and_or_b32 v14, 0x8000, v15, v14
	s_or_b32 vcc_lo, s0, vcc_lo
	v_cvt_f64_f32_e32 v[12:13], v25
	v_add_co_ci_u32_e32 v3, vcc_lo, 0, v3, vcc_lo
	v_cmp_ne_u32_e32 vcc_lo, v8, v19
	v_fma_f16 v7, v54, v18, -v7
	v_add_nc_u32_e32 v18, 0xfffffc10, v24
	v_and_or_b32 v10, 0x1ff, v11, v10
	v_and_b32_e32 v14, 0xffff, v14
	v_cndmask_b32_e64 v8, 0, 1, vcc_lo
	v_cmp_ne_u32_e32 vcc_lo, 0, v21
	v_cvt_f32_f16_e32 v7, v7
	v_lshl_or_b32 v24, v18, 12, v23
	v_or_b32_e32 v21, v27, v8
	v_cndmask_b32_e64 v19, 0, 1, vcc_lo
	v_cmp_gt_i32_e32 vcc_lo, 31, v22
	v_cvt_f64_f32_e32 v[7:8], v7
	v_lshl_or_b32 v19, v19, 9, 0x7c00
	v_cndmask_b32_e32 v3, 0x7c00, v3, vcc_lo
	v_add_co_u32 v5, vcc_lo, v17, v5
	v_add_co_ci_u32_e32 v6, vcc_lo, v16, v6, vcc_lo
	v_cmp_gt_i32_e32 vcc_lo, 1, v18
	v_mul_f64 v[12:13], v[12:13], s[2:3]
	v_cndmask_b32_e32 v16, v24, v21, vcc_lo
	v_cmp_eq_u32_e32 vcc_lo, 0x40f, v22
	v_lshrrev_b32_e32 v21, 16, v4
	v_and_b32_e32 v22, 7, v16
	v_cndmask_b32_e32 v17, v3, v19, vcc_lo
	v_cmp_ne_u32_e32 vcc_lo, 0, v10
	v_lshrrev_b32_e32 v10, 8, v11
	v_bfe_u32 v19, v11, 20, 11
	v_cmp_eq_u32_e64 s0, 3, v22
	v_lshrrev_b32_e32 v16, 2, v16
	v_cndmask_b32_e64 v3, 0, 1, vcc_lo
	v_cmp_lt_i32_e32 vcc_lo, 5, v22
	v_sub_nc_u32_e32 v15, 0x3f1, v19
	v_lshrrev_b32_e32 v11, 16, v11
	v_and_or_b32 v10, 0xffe, v10, v3
	v_mul_f64 v[3:4], v[7:8], s[2:3]
	v_med3_i32 v15, v15, 0, 13
	v_and_or_b32 v12, 0x1ff, v13, v12
	s_or_b32 vcc_lo, s0, vcc_lo
	v_or_b32_e32 v8, 0x1000, v10
	v_add_co_ci_u32_e32 v16, vcc_lo, 0, v16, vcc_lo
	v_and_or_b32 v7, 0x8000, v21, v17
	v_cmp_ne_u32_e32 vcc_lo, 0, v12
	v_lshrrev_b32_e32 v17, v15, v8
	v_lshrrev_b32_e32 v21, 8, v13
	v_bfe_u32 v22, v13, 20, 11
	v_lshrrev_b32_e32 v13, 16, v13
	v_cndmask_b32_e64 v12, 0, 1, vcc_lo
	v_lshlrev_b32_e32 v15, v15, v17
	v_cmp_ne_u32_e32 vcc_lo, 0, v23
	v_lshl_or_b32 v14, v7, 16, v14
	v_and_or_b32 v12, 0xffe, v21, v12
	v_sub_nc_u32_e32 v21, 0x3f1, v22
	v_cndmask_b32_e64 v23, 0, 1, vcc_lo
	v_cmp_ne_u32_e32 vcc_lo, v15, v8
	v_and_or_b32 v3, 0x1ff, v4, v3
	v_add_nc_u32_e32 v15, 0xfffffc10, v19
	v_or_b32_e32 v19, 0x1000, v12
	v_med3_i32 v21, v21, 0, 13
	v_cndmask_b32_e64 v8, 0, 1, vcc_lo
	v_cmp_gt_i32_e32 vcc_lo, 31, v18
	v_lshrrev_b32_e32 v24, 8, v4
	v_bfe_u32 v25, v4, 20, 11
	v_lshrrev_b32_e32 v26, v21, v19
	v_or_b32_e32 v8, v17, v8
	v_cndmask_b32_e32 v16, 0x7c00, v16, vcc_lo
	v_cmp_ne_u32_e32 vcc_lo, 0, v3
	v_lshl_or_b32 v17, v15, 12, v10
	v_lshlrev_b32_e32 v21, v21, v26
	v_cndmask_b32_e64 v3, 0, 1, vcc_lo
	v_cmp_gt_i32_e32 vcc_lo, 1, v15
	v_and_or_b32 v3, 0xffe, v24, v3
	v_sub_nc_u32_e32 v24, 0x3f1, v25
	v_cndmask_b32_e32 v8, v17, v8, vcc_lo
	v_lshl_or_b32 v17, v23, 9, 0x7c00
	v_cmp_eq_u32_e32 vcc_lo, 0x40f, v18
	v_or_b32_e32 v23, 0x1000, v3
	v_med3_i32 v24, v24, 0, 13
	v_add_nc_u32_e32 v18, 0xfffffc10, v22
	v_and_b32_e32 v27, 7, v8
	v_cndmask_b32_e32 v16, v16, v17, vcc_lo
	v_cmp_ne_u32_e32 vcc_lo, v21, v19
	v_lshrrev_b32_e32 v19, v24, v23
	v_lshl_or_b32 v21, v18, 12, v12
	v_cmp_gt_i32_e64 s1, 1, v18
	v_cmp_eq_u32_e64 s0, 3, v27
	v_cndmask_b32_e64 v17, 0, 1, vcc_lo
	v_lshlrev_b32_e32 v22, v24, v19
	v_cmp_lt_i32_e32 vcc_lo, 5, v27
	v_lshrrev_b32_e32 v8, 2, v8
	v_and_or_b32 v9, 0x8000, v9, v16
	v_or_b32_e32 v17, v26, v17
	s_or_b32 vcc_lo, s0, vcc_lo
	v_add_co_ci_u32_e32 v8, vcc_lo, 0, v8, vcc_lo
	v_cndmask_b32_e64 v17, v21, v17, s1
	v_cmp_ne_u32_e64 s1, v22, v23
	v_add_nc_u32_e32 v22, 0xfffffc10, v25
	v_cmp_ne_u32_e32 vcc_lo, 0, v10
	v_and_b32_e32 v23, 7, v17
	v_cndmask_b32_e64 v21, 0, 1, s1
	v_cmp_gt_i32_e64 s0, 1, v22
	v_cndmask_b32_e64 v10, 0, 1, vcc_lo
	v_lshrrev_b32_e32 v17, 2, v17
	v_cmp_lt_i32_e32 vcc_lo, 5, v23
	v_or_b32_e32 v19, v19, v21
	v_lshl_or_b32 v21, v22, 12, v3
	v_cmp_gt_i32_e64 s1, 31, v15
	v_lshl_or_b32 v10, v10, 9, 0x7c00
	v_cndmask_b32_e64 v16, v21, v19, s0
	v_cmp_eq_u32_e64 s0, 3, v23
	v_cndmask_b32_e64 v8, 0x7c00, v8, s1
	v_cmp_eq_u32_e64 s1, 0x40f, v15
	v_and_b32_e32 v19, 7, v16
	s_or_b32 vcc_lo, s0, vcc_lo
	v_add_co_ci_u32_e32 v17, vcc_lo, 0, v17, vcc_lo
	v_cmp_ne_u32_e32 vcc_lo, 0, v12
	v_cmp_eq_u32_e64 s0, 3, v19
	v_cndmask_b32_e64 v8, v8, v10, s1
	v_lshrrev_b32_e32 v10, 2, v16
	v_cmp_gt_i32_e64 s1, 31, v18
	v_cndmask_b32_e64 v12, 0, 1, vcc_lo
	v_cmp_lt_i32_e32 vcc_lo, 5, v19
	v_and_or_b32 v7, 0x8000, v11, v8
	v_and_b32_e32 v8, 0xffff, v9
	v_cndmask_b32_e64 v15, 0x7c00, v17, s1
	v_lshl_or_b32 v12, v12, 9, 0x7c00
	s_or_b32 vcc_lo, s0, vcc_lo
	v_lshrrev_b32_e32 v11, 16, v4
	v_add_co_ci_u32_e32 v10, vcc_lo, 0, v10, vcc_lo
	v_cmp_ne_u32_e32 vcc_lo, 0, v3
	v_cndmask_b32_e64 v3, 0, 1, vcc_lo
	v_cmp_eq_u32_e32 vcc_lo, 0x40f, v18
	v_lshl_or_b32 v3, v3, 9, 0x7c00
	v_cndmask_b32_e32 v12, v15, v12, vcc_lo
	v_cmp_gt_i32_e32 vcc_lo, 31, v22
	v_and_or_b32 v9, 0x8000, v13, v12
	v_cndmask_b32_e32 v10, 0x7c00, v10, vcc_lo
	v_cmp_eq_u32_e32 vcc_lo, 0x40f, v22
	v_lshl_or_b32 v12, v7, 16, v8
	v_and_b32_e32 v9, 0xffff, v9
	v_cndmask_b32_e32 v10, v10, v3, vcc_lo
	v_add_co_u32 v3, vcc_lo, v0, s7
	v_add_co_ci_u32_e32 v4, vcc_lo, s6, v1, vcc_lo
	v_and_or_b32 v10, 0x8000, v11, v10
	v_add_co_u32 v7, vcc_lo, v3, s5
	v_add_co_ci_u32_e32 v8, vcc_lo, s4, v4, vcc_lo
	v_lshl_or_b32 v11, v10, 16, v9
	v_add_co_u32 v9, vcc_lo, v7, s5
	v_add_co_ci_u32_e32 v10, vcc_lo, s4, v8, vcc_lo
	global_store_dword v[0:1], v2, off
	global_store_dword v[5:6], v20, off
	;; [unrolled: 1-line block ×5, first 2 shown]
.LBB0_2:
	s_endpgm
	.section	.rodata,"a",@progbits
	.p2align	6, 0x0
	.amdhsa_kernel bluestein_single_fwd_len2880_dim1_half_op_CI_CI
		.amdhsa_group_segment_fixed_size 11520
		.amdhsa_private_segment_fixed_size 0
		.amdhsa_kernarg_size 104
		.amdhsa_user_sgpr_count 6
		.amdhsa_user_sgpr_private_segment_buffer 1
		.amdhsa_user_sgpr_dispatch_ptr 0
		.amdhsa_user_sgpr_queue_ptr 0
		.amdhsa_user_sgpr_kernarg_segment_ptr 1
		.amdhsa_user_sgpr_dispatch_id 0
		.amdhsa_user_sgpr_flat_scratch_init 0
		.amdhsa_user_sgpr_private_segment_size 0
		.amdhsa_wavefront_size32 1
		.amdhsa_uses_dynamic_stack 0
		.amdhsa_system_sgpr_private_segment_wavefront_offset 0
		.amdhsa_system_sgpr_workgroup_id_x 1
		.amdhsa_system_sgpr_workgroup_id_y 0
		.amdhsa_system_sgpr_workgroup_id_z 0
		.amdhsa_system_sgpr_workgroup_info 0
		.amdhsa_system_vgpr_workitem_id 0
		.amdhsa_next_free_vgpr 240
		.amdhsa_next_free_sgpr 20
		.amdhsa_reserve_vcc 1
		.amdhsa_reserve_flat_scratch 0
		.amdhsa_float_round_mode_32 0
		.amdhsa_float_round_mode_16_64 0
		.amdhsa_float_denorm_mode_32 3
		.amdhsa_float_denorm_mode_16_64 3
		.amdhsa_dx10_clamp 1
		.amdhsa_ieee_mode 1
		.amdhsa_fp16_overflow 0
		.amdhsa_workgroup_processor_mode 1
		.amdhsa_memory_ordered 1
		.amdhsa_forward_progress 0
		.amdhsa_shared_vgpr_count 0
		.amdhsa_exception_fp_ieee_invalid_op 0
		.amdhsa_exception_fp_denorm_src 0
		.amdhsa_exception_fp_ieee_div_zero 0
		.amdhsa_exception_fp_ieee_overflow 0
		.amdhsa_exception_fp_ieee_underflow 0
		.amdhsa_exception_fp_ieee_inexact 0
		.amdhsa_exception_int_div_zero 0
	.end_amdhsa_kernel
	.text
.Lfunc_end0:
	.size	bluestein_single_fwd_len2880_dim1_half_op_CI_CI, .Lfunc_end0-bluestein_single_fwd_len2880_dim1_half_op_CI_CI
                                        ; -- End function
	.section	.AMDGPU.csdata,"",@progbits
; Kernel info:
; codeLenInByte = 49980
; NumSgprs: 22
; NumVgprs: 240
; ScratchSize: 0
; MemoryBound: 0
; FloatMode: 240
; IeeeMode: 1
; LDSByteSize: 11520 bytes/workgroup (compile time only)
; SGPRBlocks: 2
; VGPRBlocks: 29
; NumSGPRsForWavesPerEU: 22
; NumVGPRsForWavesPerEU: 240
; Occupancy: 4
; WaveLimiterHint : 1
; COMPUTE_PGM_RSRC2:SCRATCH_EN: 0
; COMPUTE_PGM_RSRC2:USER_SGPR: 6
; COMPUTE_PGM_RSRC2:TRAP_HANDLER: 0
; COMPUTE_PGM_RSRC2:TGID_X_EN: 1
; COMPUTE_PGM_RSRC2:TGID_Y_EN: 0
; COMPUTE_PGM_RSRC2:TGID_Z_EN: 0
; COMPUTE_PGM_RSRC2:TIDIG_COMP_CNT: 0
	.text
	.p2alignl 6, 3214868480
	.fill 48, 4, 3214868480
	.type	__hip_cuid_f666666212caa1e2,@object ; @__hip_cuid_f666666212caa1e2
	.section	.bss,"aw",@nobits
	.globl	__hip_cuid_f666666212caa1e2
__hip_cuid_f666666212caa1e2:
	.byte	0                               ; 0x0
	.size	__hip_cuid_f666666212caa1e2, 1

	.ident	"AMD clang version 19.0.0git (https://github.com/RadeonOpenCompute/llvm-project roc-6.4.0 25133 c7fe45cf4b819c5991fe208aaa96edf142730f1d)"
	.section	".note.GNU-stack","",@progbits
	.addrsig
	.addrsig_sym __hip_cuid_f666666212caa1e2
	.amdgpu_metadata
---
amdhsa.kernels:
  - .args:
      - .actual_access:  read_only
        .address_space:  global
        .offset:         0
        .size:           8
        .value_kind:     global_buffer
      - .actual_access:  read_only
        .address_space:  global
        .offset:         8
        .size:           8
        .value_kind:     global_buffer
      - .actual_access:  read_only
        .address_space:  global
        .offset:         16
        .size:           8
        .value_kind:     global_buffer
      - .actual_access:  read_only
        .address_space:  global
        .offset:         24
        .size:           8
        .value_kind:     global_buffer
      - .actual_access:  read_only
        .address_space:  global
        .offset:         32
        .size:           8
        .value_kind:     global_buffer
      - .offset:         40
        .size:           8
        .value_kind:     by_value
      - .address_space:  global
        .offset:         48
        .size:           8
        .value_kind:     global_buffer
      - .address_space:  global
        .offset:         56
        .size:           8
        .value_kind:     global_buffer
      - .address_space:  global
        .offset:         64
        .size:           8
        .value_kind:     global_buffer
      - .address_space:  global
        .offset:         72
        .size:           8
        .value_kind:     global_buffer
      - .offset:         80
        .size:           4
        .value_kind:     by_value
      - .address_space:  global
        .offset:         88
        .size:           8
        .value_kind:     global_buffer
      - .address_space:  global
        .offset:         96
        .size:           8
        .value_kind:     global_buffer
    .group_segment_fixed_size: 11520
    .kernarg_segment_align: 8
    .kernarg_segment_size: 104
    .language:       OpenCL C
    .language_version:
      - 2
      - 0
    .max_flat_workgroup_size: 96
    .name:           bluestein_single_fwd_len2880_dim1_half_op_CI_CI
    .private_segment_fixed_size: 0
    .sgpr_count:     22
    .sgpr_spill_count: 0
    .symbol:         bluestein_single_fwd_len2880_dim1_half_op_CI_CI.kd
    .uniform_work_group_size: 1
    .uses_dynamic_stack: false
    .vgpr_count:     240
    .vgpr_spill_count: 0
    .wavefront_size: 32
    .workgroup_processor_mode: 1
amdhsa.target:   amdgcn-amd-amdhsa--gfx1030
amdhsa.version:
  - 1
  - 2
...

	.end_amdgpu_metadata
